;; amdgpu-corpus repo=ROCm/rocPRIM kind=compiled arch=gfx1100 opt=O3
	.text
	.amdgcn_target "amdgcn-amd-amdhsa--gfx1100"
	.amdhsa_code_object_version 6
	.protected	_Z14lane_id_kernelPj    ; -- Begin function _Z14lane_id_kernelPj
	.globl	_Z14lane_id_kernelPj
	.p2align	8
	.type	_Z14lane_id_kernelPj,@function
_Z14lane_id_kernelPj:                   ; @_Z14lane_id_kernelPj
; %bb.0:
	s_clause 0x1
	s_load_b32 s2, s[0:1], 0x14
	s_load_b64 s[0:1], s[0:1], 0x0
	s_waitcnt lgkmcnt(0)
	s_and_b32 s2, s2, 0xffff
	s_delay_alu instid0(SALU_CYCLE_1) | instskip(SKIP_1) | instid1(VALU_DEP_1)
	v_mad_u64_u32 v[1:2], null, s15, s2, v[0:1]
	v_mov_b32_e32 v2, 0
	v_lshlrev_b64 v[0:1], 2, v[1:2]
	v_mbcnt_lo_u32_b32 v2, -1, 0
	s_delay_alu instid0(VALU_DEP_2) | instskip(NEXT) | instid1(VALU_DEP_3)
	v_add_co_u32 v0, vcc_lo, s0, v0
	v_add_co_ci_u32_e32 v1, vcc_lo, s1, v1, vcc_lo
	global_store_b32 v[0:1], v2, off
	s_nop 0
	s_sendmsg sendmsg(MSG_DEALLOC_VGPRS)
	s_endpgm
	.section	.rodata,"a",@progbits
	.p2align	6, 0x0
	.amdhsa_kernel _Z14lane_id_kernelPj
		.amdhsa_group_segment_fixed_size 0
		.amdhsa_private_segment_fixed_size 0
		.amdhsa_kernarg_size 264
		.amdhsa_user_sgpr_count 15
		.amdhsa_user_sgpr_dispatch_ptr 0
		.amdhsa_user_sgpr_queue_ptr 0
		.amdhsa_user_sgpr_kernarg_segment_ptr 1
		.amdhsa_user_sgpr_dispatch_id 0
		.amdhsa_user_sgpr_private_segment_size 0
		.amdhsa_wavefront_size32 1
		.amdhsa_uses_dynamic_stack 0
		.amdhsa_enable_private_segment 0
		.amdhsa_system_sgpr_workgroup_id_x 1
		.amdhsa_system_sgpr_workgroup_id_y 0
		.amdhsa_system_sgpr_workgroup_id_z 0
		.amdhsa_system_sgpr_workgroup_info 0
		.amdhsa_system_vgpr_workitem_id 0
		.amdhsa_next_free_vgpr 3
		.amdhsa_next_free_sgpr 16
		.amdhsa_reserve_vcc 1
		.amdhsa_float_round_mode_32 0
		.amdhsa_float_round_mode_16_64 0
		.amdhsa_float_denorm_mode_32 3
		.amdhsa_float_denorm_mode_16_64 3
		.amdhsa_dx10_clamp 1
		.amdhsa_ieee_mode 1
		.amdhsa_fp16_overflow 0
		.amdhsa_workgroup_processor_mode 1
		.amdhsa_memory_ordered 1
		.amdhsa_forward_progress 0
		.amdhsa_shared_vgpr_count 0
		.amdhsa_exception_fp_ieee_invalid_op 0
		.amdhsa_exception_fp_denorm_src 0
		.amdhsa_exception_fp_ieee_div_zero 0
		.amdhsa_exception_fp_ieee_overflow 0
		.amdhsa_exception_fp_ieee_underflow 0
		.amdhsa_exception_fp_ieee_inexact 0
		.amdhsa_exception_int_div_zero 0
	.end_amdhsa_kernel
	.text
.Lfunc_end0:
	.size	_Z14lane_id_kernelPj, .Lfunc_end0-_Z14lane_id_kernelPj
                                        ; -- End function
	.section	.AMDGPU.csdata,"",@progbits
; Kernel info:
; codeLenInByte = 100
; NumSgprs: 18
; NumVgprs: 3
; ScratchSize: 0
; MemoryBound: 0
; FloatMode: 240
; IeeeMode: 1
; LDSByteSize: 0 bytes/workgroup (compile time only)
; SGPRBlocks: 2
; VGPRBlocks: 0
; NumSGPRsForWavesPerEU: 18
; NumVGPRsForWavesPerEU: 3
; Occupancy: 16
; WaveLimiterHint : 0
; COMPUTE_PGM_RSRC2:SCRATCH_EN: 0
; COMPUTE_PGM_RSRC2:USER_SGPR: 15
; COMPUTE_PGM_RSRC2:TRAP_HANDLER: 0
; COMPUTE_PGM_RSRC2:TGID_X_EN: 1
; COMPUTE_PGM_RSRC2:TGID_Y_EN: 0
; COMPUTE_PGM_RSRC2:TGID_Z_EN: 0
; COMPUTE_PGM_RSRC2:TIDIG_COMP_CNT: 0
	.text
	.protected	_Z23masked_bit_count_kernelPjPKmjm ; -- Begin function _Z23masked_bit_count_kernelPjPKmjm
	.globl	_Z23masked_bit_count_kernelPjPKmjm
	.p2align	8
	.type	_Z23masked_bit_count_kernelPjPKmjm,@function
_Z23masked_bit_count_kernelPjPKmjm:     ; @_Z23masked_bit_count_kernelPjPKmjm
; %bb.0:
	s_clause 0x2
	s_load_b32 s2, s[0:1], 0x18
	s_load_b32 s3, s[0:1], 0x2c
	s_load_b128 s[4:7], s[0:1], 0x0
	v_mbcnt_lo_u32_b32 v1, -1, 0
	s_waitcnt lgkmcnt(0)
	s_delay_alu instid0(VALU_DEP_1) | instskip(SKIP_1) | instid1(VALU_DEP_1)
	v_lshrrev_b32_e64 v1, v1, s2
	s_and_b32 s2, s3, 0xffff
	v_and_b32_e32 v3, 1, v1
	v_mad_u64_u32 v[1:2], null, s15, s2, v[0:1]
	v_mov_b32_e32 v0, 0xaa
	s_mov_b32 s2, exec_lo
	s_delay_alu instid0(VALU_DEP_3)
	v_cmpx_eq_u32_e32 1, v3
	s_cbranch_execz .LBB1_2
; %bb.1:
	s_delay_alu instid0(VALU_DEP_3) | instskip(SKIP_1) | instid1(VALU_DEP_1)
	v_lshrrev_b32_e32 v0, 2, v1
	s_load_b32 s0, s[0:1], 0x10
	v_and_b32_e32 v0, 0x3ffffff8, v0
	global_load_b32 v0, v0, s[6:7]
	s_waitcnt vmcnt(0) lgkmcnt(0)
	v_mbcnt_lo_u32_b32 v0, v0, s0
.LBB1_2:
	s_or_b32 exec_lo, exec_lo, s2
	v_mov_b32_e32 v2, 0
	s_delay_alu instid0(VALU_DEP_1) | instskip(NEXT) | instid1(VALU_DEP_1)
	v_lshlrev_b64 v[1:2], 2, v[1:2]
	v_add_co_u32 v1, vcc_lo, s4, v1
	s_delay_alu instid0(VALU_DEP_2)
	v_add_co_ci_u32_e32 v2, vcc_lo, s5, v2, vcc_lo
	global_store_b32 v[1:2], v0, off
	s_nop 0
	s_sendmsg sendmsg(MSG_DEALLOC_VGPRS)
	s_endpgm
	.section	.rodata,"a",@progbits
	.p2align	6, 0x0
	.amdhsa_kernel _Z23masked_bit_count_kernelPjPKmjm
		.amdhsa_group_segment_fixed_size 0
		.amdhsa_private_segment_fixed_size 0
		.amdhsa_kernarg_size 288
		.amdhsa_user_sgpr_count 15
		.amdhsa_user_sgpr_dispatch_ptr 0
		.amdhsa_user_sgpr_queue_ptr 0
		.amdhsa_user_sgpr_kernarg_segment_ptr 1
		.amdhsa_user_sgpr_dispatch_id 0
		.amdhsa_user_sgpr_private_segment_size 0
		.amdhsa_wavefront_size32 1
		.amdhsa_uses_dynamic_stack 0
		.amdhsa_enable_private_segment 0
		.amdhsa_system_sgpr_workgroup_id_x 1
		.amdhsa_system_sgpr_workgroup_id_y 0
		.amdhsa_system_sgpr_workgroup_id_z 0
		.amdhsa_system_sgpr_workgroup_info 0
		.amdhsa_system_vgpr_workitem_id 0
		.amdhsa_next_free_vgpr 4
		.amdhsa_next_free_sgpr 16
		.amdhsa_reserve_vcc 1
		.amdhsa_float_round_mode_32 0
		.amdhsa_float_round_mode_16_64 0
		.amdhsa_float_denorm_mode_32 3
		.amdhsa_float_denorm_mode_16_64 3
		.amdhsa_dx10_clamp 1
		.amdhsa_ieee_mode 1
		.amdhsa_fp16_overflow 0
		.amdhsa_workgroup_processor_mode 1
		.amdhsa_memory_ordered 1
		.amdhsa_forward_progress 0
		.amdhsa_shared_vgpr_count 0
		.amdhsa_exception_fp_ieee_invalid_op 0
		.amdhsa_exception_fp_denorm_src 0
		.amdhsa_exception_fp_ieee_div_zero 0
		.amdhsa_exception_fp_ieee_overflow 0
		.amdhsa_exception_fp_ieee_underflow 0
		.amdhsa_exception_fp_ieee_inexact 0
		.amdhsa_exception_int_div_zero 0
	.end_amdhsa_kernel
	.text
.Lfunc_end1:
	.size	_Z23masked_bit_count_kernelPjPKmjm, .Lfunc_end1-_Z23masked_bit_count_kernelPjPKmjm
                                        ; -- End function
	.section	.AMDGPU.csdata,"",@progbits
; Kernel info:
; codeLenInByte = 196
; NumSgprs: 18
; NumVgprs: 4
; ScratchSize: 0
; MemoryBound: 0
; FloatMode: 240
; IeeeMode: 1
; LDSByteSize: 0 bytes/workgroup (compile time only)
; SGPRBlocks: 2
; VGPRBlocks: 0
; NumSGPRsForWavesPerEU: 18
; NumVGPRsForWavesPerEU: 4
; Occupancy: 16
; WaveLimiterHint : 0
; COMPUTE_PGM_RSRC2:SCRATCH_EN: 0
; COMPUTE_PGM_RSRC2:USER_SGPR: 15
; COMPUTE_PGM_RSRC2:TRAP_HANDLER: 0
; COMPUTE_PGM_RSRC2:TGID_X_EN: 1
; COMPUTE_PGM_RSRC2:TGID_Y_EN: 0
; COMPUTE_PGM_RSRC2:TGID_Z_EN: 0
; COMPUTE_PGM_RSRC2:TIDIG_COMP_CNT: 0
	.text
	.protected	_Z13ballot_kernelPmPKjm ; -- Begin function _Z13ballot_kernelPmPKjm
	.globl	_Z13ballot_kernelPmPKjm
	.p2align	8
	.type	_Z13ballot_kernelPmPKjm,@function
_Z13ballot_kernelPmPKjm:                ; @_Z13ballot_kernelPmPKjm
; %bb.0:
	s_load_b64 s[4:5], s[0:1], 0x10
	s_waitcnt lgkmcnt(0)
	s_clause 0x1
	s_load_b32 s5, s[0:1], 0x24
	s_load_b128 s[0:3], s[0:1], 0x0
	v_mbcnt_lo_u32_b32 v1, -1, 0
	v_mov_b32_e32 v3, 0xaa
	v_mov_b32_e32 v4, 0
	s_mov_b32 s6, exec_lo
	s_delay_alu instid0(VALU_DEP_3) | instskip(SKIP_3) | instid1(VALU_DEP_1)
	v_lshrrev_b32_e64 v1, v1, s4
	s_waitcnt lgkmcnt(0)
	s_and_b32 s4, s5, 0xffff
	s_mov_b32 s5, 0
	v_and_b32_e32 v5, 1, v1
	v_mad_u64_u32 v[1:2], null, s15, s4, v[0:1]
	v_mov_b32_e32 v2, 0
	s_delay_alu instid0(VALU_DEP_3)
	v_cmpx_eq_u32_e32 1, v5
	s_cbranch_execz .LBB2_2
; %bb.1:
	s_delay_alu instid0(VALU_DEP_2) | instskip(NEXT) | instid1(VALU_DEP_1)
	v_lshlrev_b64 v[3:4], 2, v[1:2]
	v_add_co_u32 v3, vcc_lo, s2, v3
	s_delay_alu instid0(VALU_DEP_2) | instskip(SKIP_3) | instid1(VALU_DEP_1)
	v_add_co_ci_u32_e32 v4, vcc_lo, s3, v4, vcc_lo
	global_load_b32 v0, v[3:4], off
	s_waitcnt vmcnt(0)
	v_cmp_ne_u32_e64 s4, 0, v0
	v_dual_mov_b32 v3, s4 :: v_dual_mov_b32 v4, s5
.LBB2_2:
	s_or_b32 exec_lo, exec_lo, s6
	s_delay_alu instid0(VALU_DEP_2) | instskip(NEXT) | instid1(VALU_DEP_1)
	v_lshlrev_b64 v[0:1], 3, v[1:2]
	v_add_co_u32 v0, vcc_lo, s0, v0
	s_delay_alu instid0(VALU_DEP_2)
	v_add_co_ci_u32_e32 v1, vcc_lo, s1, v1, vcc_lo
	global_store_b64 v[0:1], v[3:4], off
	s_nop 0
	s_sendmsg sendmsg(MSG_DEALLOC_VGPRS)
	s_endpgm
	.section	.rodata,"a",@progbits
	.p2align	6, 0x0
	.amdhsa_kernel _Z13ballot_kernelPmPKjm
		.amdhsa_group_segment_fixed_size 0
		.amdhsa_private_segment_fixed_size 0
		.amdhsa_kernarg_size 280
		.amdhsa_user_sgpr_count 15
		.amdhsa_user_sgpr_dispatch_ptr 0
		.amdhsa_user_sgpr_queue_ptr 0
		.amdhsa_user_sgpr_kernarg_segment_ptr 1
		.amdhsa_user_sgpr_dispatch_id 0
		.amdhsa_user_sgpr_private_segment_size 0
		.amdhsa_wavefront_size32 1
		.amdhsa_uses_dynamic_stack 0
		.amdhsa_enable_private_segment 0
		.amdhsa_system_sgpr_workgroup_id_x 1
		.amdhsa_system_sgpr_workgroup_id_y 0
		.amdhsa_system_sgpr_workgroup_id_z 0
		.amdhsa_system_sgpr_workgroup_info 0
		.amdhsa_system_vgpr_workitem_id 0
		.amdhsa_next_free_vgpr 6
		.amdhsa_next_free_sgpr 16
		.amdhsa_reserve_vcc 1
		.amdhsa_float_round_mode_32 0
		.amdhsa_float_round_mode_16_64 0
		.amdhsa_float_denorm_mode_32 3
		.amdhsa_float_denorm_mode_16_64 3
		.amdhsa_dx10_clamp 1
		.amdhsa_ieee_mode 1
		.amdhsa_fp16_overflow 0
		.amdhsa_workgroup_processor_mode 1
		.amdhsa_memory_ordered 1
		.amdhsa_forward_progress 0
		.amdhsa_shared_vgpr_count 0
		.amdhsa_exception_fp_ieee_invalid_op 0
		.amdhsa_exception_fp_denorm_src 0
		.amdhsa_exception_fp_ieee_div_zero 0
		.amdhsa_exception_fp_ieee_overflow 0
		.amdhsa_exception_fp_ieee_underflow 0
		.amdhsa_exception_fp_ieee_inexact 0
		.amdhsa_exception_int_div_zero 0
	.end_amdhsa_kernel
	.text
.Lfunc_end2:
	.size	_Z13ballot_kernelPmPKjm, .Lfunc_end2-_Z13ballot_kernelPmPKjm
                                        ; -- End function
	.section	.AMDGPU.csdata,"",@progbits
; Kernel info:
; codeLenInByte = 220
; NumSgprs: 18
; NumVgprs: 6
; ScratchSize: 0
; MemoryBound: 0
; FloatMode: 240
; IeeeMode: 1
; LDSByteSize: 0 bytes/workgroup (compile time only)
; SGPRBlocks: 2
; VGPRBlocks: 0
; NumSGPRsForWavesPerEU: 18
; NumVGPRsForWavesPerEU: 6
; Occupancy: 16
; WaveLimiterHint : 0
; COMPUTE_PGM_RSRC2:SCRATCH_EN: 0
; COMPUTE_PGM_RSRC2:USER_SGPR: 15
; COMPUTE_PGM_RSRC2:TRAP_HANDLER: 0
; COMPUTE_PGM_RSRC2:TGID_X_EN: 1
; COMPUTE_PGM_RSRC2:TGID_Y_EN: 0
; COMPUTE_PGM_RSRC2:TGID_Z_EN: 0
; COMPUTE_PGM_RSRC2:TIDIG_COMP_CNT: 0
	.text
	.protected	_Z18group_elect_kernelPmS_m ; -- Begin function _Z18group_elect_kernelPmS_m
	.globl	_Z18group_elect_kernelPmS_m
	.p2align	8
	.type	_Z18group_elect_kernelPmS_m,@function
_Z18group_elect_kernelPmS_m:            ; @_Z18group_elect_kernelPmS_m
; %bb.0:
	s_clause 0x1
	s_load_b32 s2, s[0:1], 0x24
	s_load_b128 s[4:7], s[0:1], 0x0
	s_waitcnt lgkmcnt(0)
	s_and_b32 s2, s2, 0xffff
	s_delay_alu instid0(SALU_CYCLE_1) | instskip(SKIP_1) | instid1(VALU_DEP_1)
	v_mad_u64_u32 v[1:2], null, s15, s2, v[0:1]
	v_mov_b32_e32 v2, 0
	v_lshlrev_b64 v[3:4], 3, v[1:2]
	s_delay_alu instid0(VALU_DEP_1) | instskip(NEXT) | instid1(VALU_DEP_2)
	v_add_co_u32 v3, vcc_lo, s6, v3
	v_add_co_ci_u32_e32 v4, vcc_lo, s7, v4, vcc_lo
	global_load_b32 v1, v[3:4], off
	s_waitcnt vmcnt(0)
	v_mbcnt_lo_u32_b32 v3, v1, 0
	v_cmp_ne_u32_e64 s2, 0, v1
	s_delay_alu instid0(VALU_DEP_2) | instskip(NEXT) | instid1(VALU_DEP_2)
	v_cmp_eq_u32_e32 vcc_lo, 0, v3
	s_and_b32 s2, s2, vcc_lo
	s_delay_alu instid0(SALU_CYCLE_1)
	s_and_saveexec_b32 s3, s2
	s_cbranch_execz .LBB3_2
; %bb.1:
	s_load_b64 s[0:1], s[0:1], 0x10
	v_lshrrev_b32_e32 v0, 5, v0
	s_waitcnt lgkmcnt(0)
	s_delay_alu instid0(VALU_DEP_1) | instskip(SKIP_2) | instid1(VALU_DEP_2)
	v_mad_u64_u32 v[3:4], null, s15, s0, v[0:1]
	v_mov_b32_e32 v4, v2
	v_mbcnt_lo_u32_b32 v2, -1, 0
	v_lshlrev_b64 v[0:1], 3, v[3:4]
	s_delay_alu instid0(VALU_DEP_2) | instskip(NEXT) | instid1(VALU_DEP_2)
	v_lshlrev_b64 v[2:3], v2, 1
	v_add_co_u32 v0, vcc_lo, s4, v0
	s_delay_alu instid0(VALU_DEP_3)
	v_add_co_ci_u32_e32 v1, vcc_lo, s5, v1, vcc_lo
	global_atomic_or_b64 v[0:1], v[2:3], off
.LBB3_2:
	s_nop 0
	s_sendmsg sendmsg(MSG_DEALLOC_VGPRS)
	s_endpgm
	.section	.rodata,"a",@progbits
	.p2align	6, 0x0
	.amdhsa_kernel _Z18group_elect_kernelPmS_m
		.amdhsa_group_segment_fixed_size 0
		.amdhsa_private_segment_fixed_size 0
		.amdhsa_kernarg_size 280
		.amdhsa_user_sgpr_count 15
		.amdhsa_user_sgpr_dispatch_ptr 0
		.amdhsa_user_sgpr_queue_ptr 0
		.amdhsa_user_sgpr_kernarg_segment_ptr 1
		.amdhsa_user_sgpr_dispatch_id 0
		.amdhsa_user_sgpr_private_segment_size 0
		.amdhsa_wavefront_size32 1
		.amdhsa_uses_dynamic_stack 0
		.amdhsa_enable_private_segment 0
		.amdhsa_system_sgpr_workgroup_id_x 1
		.amdhsa_system_sgpr_workgroup_id_y 0
		.amdhsa_system_sgpr_workgroup_id_z 0
		.amdhsa_system_sgpr_workgroup_info 0
		.amdhsa_system_vgpr_workitem_id 0
		.amdhsa_next_free_vgpr 5
		.amdhsa_next_free_sgpr 16
		.amdhsa_reserve_vcc 1
		.amdhsa_float_round_mode_32 0
		.amdhsa_float_round_mode_16_64 0
		.amdhsa_float_denorm_mode_32 3
		.amdhsa_float_denorm_mode_16_64 3
		.amdhsa_dx10_clamp 1
		.amdhsa_ieee_mode 1
		.amdhsa_fp16_overflow 0
		.amdhsa_workgroup_processor_mode 1
		.amdhsa_memory_ordered 1
		.amdhsa_forward_progress 0
		.amdhsa_shared_vgpr_count 0
		.amdhsa_exception_fp_ieee_invalid_op 0
		.amdhsa_exception_fp_denorm_src 0
		.amdhsa_exception_fp_ieee_div_zero 0
		.amdhsa_exception_fp_ieee_overflow 0
		.amdhsa_exception_fp_ieee_underflow 0
		.amdhsa_exception_fp_ieee_inexact 0
		.amdhsa_exception_int_div_zero 0
	.end_amdhsa_kernel
	.text
.Lfunc_end3:
	.size	_Z18group_elect_kernelPmS_m, .Lfunc_end3-_Z18group_elect_kernelPmS_m
                                        ; -- End function
	.section	.AMDGPU.csdata,"",@progbits
; Kernel info:
; codeLenInByte = 220
; NumSgprs: 18
; NumVgprs: 5
; ScratchSize: 0
; MemoryBound: 0
; FloatMode: 240
; IeeeMode: 1
; LDSByteSize: 0 bytes/workgroup (compile time only)
; SGPRBlocks: 2
; VGPRBlocks: 0
; NumSGPRsForWavesPerEU: 18
; NumVGPRsForWavesPerEU: 5
; Occupancy: 16
; WaveLimiterHint : 0
; COMPUTE_PGM_RSRC2:SCRATCH_EN: 0
; COMPUTE_PGM_RSRC2:USER_SGPR: 15
; COMPUTE_PGM_RSRC2:TRAP_HANDLER: 0
; COMPUTE_PGM_RSRC2:TGID_X_EN: 1
; COMPUTE_PGM_RSRC2:TGID_Y_EN: 0
; COMPUTE_PGM_RSRC2:TGID_Z_EN: 0
; COMPUTE_PGM_RSRC2:TIDIG_COMP_CNT: 0
	.section	.text._Z14shuffle_kernelIL17shuffle_test_type0E16custom_16alignedEvPT0_jjm,"axG",@progbits,_Z14shuffle_kernelIL17shuffle_test_type0E16custom_16alignedEvPT0_jjm,comdat
	.protected	_Z14shuffle_kernelIL17shuffle_test_type0E16custom_16alignedEvPT0_jjm ; -- Begin function _Z14shuffle_kernelIL17shuffle_test_type0E16custom_16alignedEvPT0_jjm
	.globl	_Z14shuffle_kernelIL17shuffle_test_type0E16custom_16alignedEvPT0_jjm
	.p2align	8
	.type	_Z14shuffle_kernelIL17shuffle_test_type0E16custom_16alignedEvPT0_jjm,@function
_Z14shuffle_kernelIL17shuffle_test_type0E16custom_16alignedEvPT0_jjm: ; @_Z14shuffle_kernelIL17shuffle_test_type0E16custom_16alignedEvPT0_jjm
; %bb.0:
	s_clause 0x2
	s_load_b32 s4, s[0:1], 0x24
	s_load_b32 s5, s[0:1], 0x10
	s_load_b64 s[2:3], s[0:1], 0x0
	v_mbcnt_lo_u32_b32 v5, -1, 0
	s_waitcnt lgkmcnt(0)
	s_and_b32 s4, s4, 0xffff
	s_delay_alu instid0(SALU_CYCLE_1) | instskip(SKIP_2) | instid1(VALU_DEP_1)
	v_mad_u64_u32 v[1:2], null, s15, s4, v[0:1]
	v_mov_b32_e32 v2, 0
	v_lshrrev_b32_e64 v0, v5, s5
	v_and_b32_e32 v6, 1, v0
	s_delay_alu instid0(VALU_DEP_3) | instskip(SKIP_2) | instid1(VALU_DEP_3)
	v_lshlrev_b64 v[3:4], 4, v[1:2]
	v_dual_mov_b32 v1, 0xaa :: v_dual_mov_b32 v0, 0xaa
	v_mov_b32_e32 v2, 0x432a0000
	v_add_co_u32 v3, s2, s2, v3
	s_delay_alu instid0(VALU_DEP_1)
	v_add_co_ci_u32_e64 v4, s2, s3, v4, s2
	s_mov_b32 s2, exec_lo
	v_cmpx_eq_u32_e32 1, v6
	s_cbranch_execz .LBB4_2
; %bb.1:
	global_load_b128 v[6:9], v[3:4], off
	s_load_b64 s[0:1], s[0:1], 0x8
	s_waitcnt lgkmcnt(0)
	s_sub_i32 s1, 0, s1
	v_subrev_nc_u32_e32 v0, s0, v5
	v_and_b32_e32 v1, s1, v5
	s_delay_alu instid0(VALU_DEP_1) | instskip(SKIP_1) | instid1(VALU_DEP_1)
	v_cmp_lt_i32_e32 vcc_lo, v0, v1
	v_cndmask_b32_e32 v0, v0, v5, vcc_lo
	v_lshlrev_b32_e32 v2, 2, v0
	s_waitcnt vmcnt(0)
	ds_bpermute_b32 v0, v2, v6
	ds_bpermute_b32 v1, v2, v7
	;; [unrolled: 1-line block ×3, first 2 shown]
.LBB4_2:
	s_or_b32 exec_lo, exec_lo, s2
	s_waitcnt lgkmcnt(0)
	global_store_b96 v[3:4], v[0:2], off
	s_nop 0
	s_sendmsg sendmsg(MSG_DEALLOC_VGPRS)
	s_endpgm
	.section	.rodata,"a",@progbits
	.p2align	6, 0x0
	.amdhsa_kernel _Z14shuffle_kernelIL17shuffle_test_type0E16custom_16alignedEvPT0_jjm
		.amdhsa_group_segment_fixed_size 0
		.amdhsa_private_segment_fixed_size 0
		.amdhsa_kernarg_size 280
		.amdhsa_user_sgpr_count 15
		.amdhsa_user_sgpr_dispatch_ptr 0
		.amdhsa_user_sgpr_queue_ptr 0
		.amdhsa_user_sgpr_kernarg_segment_ptr 1
		.amdhsa_user_sgpr_dispatch_id 0
		.amdhsa_user_sgpr_private_segment_size 0
		.amdhsa_wavefront_size32 1
		.amdhsa_uses_dynamic_stack 0
		.amdhsa_enable_private_segment 0
		.amdhsa_system_sgpr_workgroup_id_x 1
		.amdhsa_system_sgpr_workgroup_id_y 0
		.amdhsa_system_sgpr_workgroup_id_z 0
		.amdhsa_system_sgpr_workgroup_info 0
		.amdhsa_system_vgpr_workitem_id 0
		.amdhsa_next_free_vgpr 10
		.amdhsa_next_free_sgpr 16
		.amdhsa_reserve_vcc 1
		.amdhsa_float_round_mode_32 0
		.amdhsa_float_round_mode_16_64 0
		.amdhsa_float_denorm_mode_32 3
		.amdhsa_float_denorm_mode_16_64 3
		.amdhsa_dx10_clamp 1
		.amdhsa_ieee_mode 1
		.amdhsa_fp16_overflow 0
		.amdhsa_workgroup_processor_mode 1
		.amdhsa_memory_ordered 1
		.amdhsa_forward_progress 0
		.amdhsa_shared_vgpr_count 0
		.amdhsa_exception_fp_ieee_invalid_op 0
		.amdhsa_exception_fp_denorm_src 0
		.amdhsa_exception_fp_ieee_div_zero 0
		.amdhsa_exception_fp_ieee_overflow 0
		.amdhsa_exception_fp_ieee_underflow 0
		.amdhsa_exception_fp_ieee_inexact 0
		.amdhsa_exception_int_div_zero 0
	.end_amdhsa_kernel
	.section	.text._Z14shuffle_kernelIL17shuffle_test_type0E16custom_16alignedEvPT0_jjm,"axG",@progbits,_Z14shuffle_kernelIL17shuffle_test_type0E16custom_16alignedEvPT0_jjm,comdat
.Lfunc_end4:
	.size	_Z14shuffle_kernelIL17shuffle_test_type0E16custom_16alignedEvPT0_jjm, .Lfunc_end4-_Z14shuffle_kernelIL17shuffle_test_type0E16custom_16alignedEvPT0_jjm
                                        ; -- End function
	.section	.AMDGPU.csdata,"",@progbits
; Kernel info:
; codeLenInByte = 244
; NumSgprs: 18
; NumVgprs: 10
; ScratchSize: 0
; MemoryBound: 0
; FloatMode: 240
; IeeeMode: 1
; LDSByteSize: 0 bytes/workgroup (compile time only)
; SGPRBlocks: 2
; VGPRBlocks: 1
; NumSGPRsForWavesPerEU: 18
; NumVGPRsForWavesPerEU: 10
; Occupancy: 16
; WaveLimiterHint : 0
; COMPUTE_PGM_RSRC2:SCRATCH_EN: 0
; COMPUTE_PGM_RSRC2:USER_SGPR: 15
; COMPUTE_PGM_RSRC2:TRAP_HANDLER: 0
; COMPUTE_PGM_RSRC2:TGID_X_EN: 1
; COMPUTE_PGM_RSRC2:TGID_Y_EN: 0
; COMPUTE_PGM_RSRC2:TGID_Z_EN: 0
; COMPUTE_PGM_RSRC2:TIDIG_COMP_CNT: 0
	.section	.text._Z14shuffle_kernelIL17shuffle_test_type0E17custom_notalignedEvPT0_jjm,"axG",@progbits,_Z14shuffle_kernelIL17shuffle_test_type0E17custom_notalignedEvPT0_jjm,comdat
	.protected	_Z14shuffle_kernelIL17shuffle_test_type0E17custom_notalignedEvPT0_jjm ; -- Begin function _Z14shuffle_kernelIL17shuffle_test_type0E17custom_notalignedEvPT0_jjm
	.globl	_Z14shuffle_kernelIL17shuffle_test_type0E17custom_notalignedEvPT0_jjm
	.p2align	8
	.type	_Z14shuffle_kernelIL17shuffle_test_type0E17custom_notalignedEvPT0_jjm,@function
_Z14shuffle_kernelIL17shuffle_test_type0E17custom_notalignedEvPT0_jjm: ; @_Z14shuffle_kernelIL17shuffle_test_type0E17custom_notalignedEvPT0_jjm
; %bb.0:
	s_clause 0x2
	s_load_b32 s4, s[0:1], 0x24
	s_load_b32 s5, s[0:1], 0x10
	s_load_b64 s[2:3], s[0:1], 0x0
	v_mbcnt_lo_u32_b32 v7, -1, 0
	v_mov_b32_e32 v6, 0xaa
	s_waitcnt lgkmcnt(0)
	s_and_b32 s4, s4, 0xffff
	s_delay_alu instid0(VALU_DEP_2) | instskip(SKIP_2) | instid1(VALU_DEP_3)
	v_lshrrev_b32_e64 v3, v7, s5
	v_mad_u64_u32 v[1:2], null, s15, s4, v[0:1]
	v_mov_b32_e32 v2, 0x432a0000
	v_dual_mov_b32 v3, 0xaa :: v_dual_and_b32 v0, 1, v3
	s_delay_alu instid0(VALU_DEP_3) | instskip(NEXT) | instid1(VALU_DEP_2)
	v_mad_u64_u32 v[4:5], null, v1, 24, s[2:3]
	v_cmp_eq_u32_e32 vcc_lo, 1, v0
	v_mov_b32_e32 v0, 0
	v_mov_b32_e32 v1, 0x40654000
	s_and_saveexec_b32 s2, vcc_lo
	s_cbranch_execz .LBB5_2
; %bb.1:
	s_clause 0x1
	global_load_b32 v6, v[4:5], off
	global_load_b128 v[0:3], v[4:5], off offset:8
	s_load_b64 s[0:1], s[0:1], 0x8
	s_waitcnt lgkmcnt(0)
	s_sub_i32 s1, 0, s1
	v_subrev_nc_u32_e32 v8, s0, v7
	v_and_b32_e32 v9, s1, v7
	s_delay_alu instid0(VALU_DEP_1) | instskip(SKIP_1) | instid1(VALU_DEP_1)
	v_cmp_lt_i32_e32 vcc_lo, v8, v9
	v_cndmask_b32_e32 v7, v8, v7, vcc_lo
	v_lshlrev_b32_e32 v7, 2, v7
	s_waitcnt vmcnt(1)
	ds_bpermute_b32 v6, v7, v6
	s_waitcnt vmcnt(0)
	ds_bpermute_b32 v0, v7, v0
	ds_bpermute_b32 v1, v7, v1
	;; [unrolled: 1-line block ×4, first 2 shown]
.LBB5_2:
	s_or_b32 exec_lo, exec_lo, s2
	s_waitcnt lgkmcnt(4)
	global_store_b16 v[4:5], v6, off
	s_waitcnt lgkmcnt(0)
	global_store_b128 v[4:5], v[0:3], off offset:8
	s_nop 0
	s_sendmsg sendmsg(MSG_DEALLOC_VGPRS)
	s_endpgm
	.section	.rodata,"a",@progbits
	.p2align	6, 0x0
	.amdhsa_kernel _Z14shuffle_kernelIL17shuffle_test_type0E17custom_notalignedEvPT0_jjm
		.amdhsa_group_segment_fixed_size 0
		.amdhsa_private_segment_fixed_size 0
		.amdhsa_kernarg_size 280
		.amdhsa_user_sgpr_count 15
		.amdhsa_user_sgpr_dispatch_ptr 0
		.amdhsa_user_sgpr_queue_ptr 0
		.amdhsa_user_sgpr_kernarg_segment_ptr 1
		.amdhsa_user_sgpr_dispatch_id 0
		.amdhsa_user_sgpr_private_segment_size 0
		.amdhsa_wavefront_size32 1
		.amdhsa_uses_dynamic_stack 0
		.amdhsa_enable_private_segment 0
		.amdhsa_system_sgpr_workgroup_id_x 1
		.amdhsa_system_sgpr_workgroup_id_y 0
		.amdhsa_system_sgpr_workgroup_id_z 0
		.amdhsa_system_sgpr_workgroup_info 0
		.amdhsa_system_vgpr_workitem_id 0
		.amdhsa_next_free_vgpr 10
		.amdhsa_next_free_sgpr 16
		.amdhsa_reserve_vcc 1
		.amdhsa_float_round_mode_32 0
		.amdhsa_float_round_mode_16_64 0
		.amdhsa_float_denorm_mode_32 3
		.amdhsa_float_denorm_mode_16_64 3
		.amdhsa_dx10_clamp 1
		.amdhsa_ieee_mode 1
		.amdhsa_fp16_overflow 0
		.amdhsa_workgroup_processor_mode 1
		.amdhsa_memory_ordered 1
		.amdhsa_forward_progress 0
		.amdhsa_shared_vgpr_count 0
		.amdhsa_exception_fp_ieee_invalid_op 0
		.amdhsa_exception_fp_denorm_src 0
		.amdhsa_exception_fp_ieee_div_zero 0
		.amdhsa_exception_fp_ieee_overflow 0
		.amdhsa_exception_fp_ieee_underflow 0
		.amdhsa_exception_fp_ieee_inexact 0
		.amdhsa_exception_int_div_zero 0
	.end_amdhsa_kernel
	.section	.text._Z14shuffle_kernelIL17shuffle_test_type0E17custom_notalignedEvPT0_jjm,"axG",@progbits,_Z14shuffle_kernelIL17shuffle_test_type0E17custom_notalignedEvPT0_jjm,comdat
.Lfunc_end5:
	.size	_Z14shuffle_kernelIL17shuffle_test_type0E17custom_notalignedEvPT0_jjm, .Lfunc_end5-_Z14shuffle_kernelIL17shuffle_test_type0E17custom_notalignedEvPT0_jjm
                                        ; -- End function
	.section	.AMDGPU.csdata,"",@progbits
; Kernel info:
; codeLenInByte = 280
; NumSgprs: 18
; NumVgprs: 10
; ScratchSize: 0
; MemoryBound: 0
; FloatMode: 240
; IeeeMode: 1
; LDSByteSize: 0 bytes/workgroup (compile time only)
; SGPRBlocks: 2
; VGPRBlocks: 1
; NumSGPRsForWavesPerEU: 18
; NumVGPRsForWavesPerEU: 10
; Occupancy: 16
; WaveLimiterHint : 0
; COMPUTE_PGM_RSRC2:SCRATCH_EN: 0
; COMPUTE_PGM_RSRC2:USER_SGPR: 15
; COMPUTE_PGM_RSRC2:TRAP_HANDLER: 0
; COMPUTE_PGM_RSRC2:TGID_X_EN: 1
; COMPUTE_PGM_RSRC2:TGID_Y_EN: 0
; COMPUTE_PGM_RSRC2:TGID_Z_EN: 0
; COMPUTE_PGM_RSRC2:TIDIG_COMP_CNT: 0
	.section	.text._Z14shuffle_kernelIL17shuffle_test_type0EhEvPT0_jjm,"axG",@progbits,_Z14shuffle_kernelIL17shuffle_test_type0EhEvPT0_jjm,comdat
	.protected	_Z14shuffle_kernelIL17shuffle_test_type0EhEvPT0_jjm ; -- Begin function _Z14shuffle_kernelIL17shuffle_test_type0EhEvPT0_jjm
	.globl	_Z14shuffle_kernelIL17shuffle_test_type0EhEvPT0_jjm
	.p2align	8
	.type	_Z14shuffle_kernelIL17shuffle_test_type0EhEvPT0_jjm,@function
_Z14shuffle_kernelIL17shuffle_test_type0EhEvPT0_jjm: ; @_Z14shuffle_kernelIL17shuffle_test_type0EhEvPT0_jjm
; %bb.0:
	s_clause 0x2
	s_load_b32 s4, s[0:1], 0x24
	s_load_b32 s5, s[0:1], 0x10
	s_load_b64 s[2:3], s[0:1], 0x0
	v_mbcnt_lo_u32_b32 v2, -1, 0
	s_waitcnt lgkmcnt(0)
	s_and_b32 s4, s4, 0xffff
	s_delay_alu instid0(SALU_CYCLE_1) | instskip(NEXT) | instid1(VALU_DEP_2)
	v_mad_u64_u32 v[3:4], null, s15, s4, v[0:1]
	v_lshrrev_b32_e64 v0, v2, s5
	s_delay_alu instid0(VALU_DEP_1) | instskip(NEXT) | instid1(VALU_DEP_3)
	v_and_b32_e32 v4, 1, v0
	v_add_co_u32 v0, s2, s2, v3
	v_mov_b32_e32 v3, 0xaa
	v_add_co_ci_u32_e64 v1, null, s3, 0, s2
	s_mov_b32 s2, exec_lo
	v_cmpx_eq_u32_e32 1, v4
	s_cbranch_execz .LBB6_2
; %bb.1:
	global_load_u8 v3, v[0:1], off
	s_load_b64 s[0:1], s[0:1], 0x8
	s_waitcnt lgkmcnt(0)
	s_sub_i32 s1, 0, s1
	v_subrev_nc_u32_e32 v4, s0, v2
	v_and_b32_e32 v5, s1, v2
	s_delay_alu instid0(VALU_DEP_1) | instskip(SKIP_1) | instid1(VALU_DEP_1)
	v_cmp_lt_i32_e32 vcc_lo, v4, v5
	v_cndmask_b32_e32 v2, v4, v2, vcc_lo
	v_lshlrev_b32_e32 v2, 2, v2
	s_waitcnt vmcnt(0)
	ds_bpermute_b32 v3, v2, v3
.LBB6_2:
	s_or_b32 exec_lo, exec_lo, s2
	s_waitcnt lgkmcnt(0)
	global_store_b8 v[0:1], v3, off
	s_nop 0
	s_sendmsg sendmsg(MSG_DEALLOC_VGPRS)
	s_endpgm
	.section	.rodata,"a",@progbits
	.p2align	6, 0x0
	.amdhsa_kernel _Z14shuffle_kernelIL17shuffle_test_type0EhEvPT0_jjm
		.amdhsa_group_segment_fixed_size 0
		.amdhsa_private_segment_fixed_size 0
		.amdhsa_kernarg_size 280
		.amdhsa_user_sgpr_count 15
		.amdhsa_user_sgpr_dispatch_ptr 0
		.amdhsa_user_sgpr_queue_ptr 0
		.amdhsa_user_sgpr_kernarg_segment_ptr 1
		.amdhsa_user_sgpr_dispatch_id 0
		.amdhsa_user_sgpr_private_segment_size 0
		.amdhsa_wavefront_size32 1
		.amdhsa_uses_dynamic_stack 0
		.amdhsa_enable_private_segment 0
		.amdhsa_system_sgpr_workgroup_id_x 1
		.amdhsa_system_sgpr_workgroup_id_y 0
		.amdhsa_system_sgpr_workgroup_id_z 0
		.amdhsa_system_sgpr_workgroup_info 0
		.amdhsa_system_vgpr_workitem_id 0
		.amdhsa_next_free_vgpr 6
		.amdhsa_next_free_sgpr 16
		.amdhsa_reserve_vcc 1
		.amdhsa_float_round_mode_32 0
		.amdhsa_float_round_mode_16_64 0
		.amdhsa_float_denorm_mode_32 3
		.amdhsa_float_denorm_mode_16_64 3
		.amdhsa_dx10_clamp 1
		.amdhsa_ieee_mode 1
		.amdhsa_fp16_overflow 0
		.amdhsa_workgroup_processor_mode 1
		.amdhsa_memory_ordered 1
		.amdhsa_forward_progress 0
		.amdhsa_shared_vgpr_count 0
		.amdhsa_exception_fp_ieee_invalid_op 0
		.amdhsa_exception_fp_denorm_src 0
		.amdhsa_exception_fp_ieee_div_zero 0
		.amdhsa_exception_fp_ieee_overflow 0
		.amdhsa_exception_fp_ieee_underflow 0
		.amdhsa_exception_fp_ieee_inexact 0
		.amdhsa_exception_int_div_zero 0
	.end_amdhsa_kernel
	.section	.text._Z14shuffle_kernelIL17shuffle_test_type0EhEvPT0_jjm,"axG",@progbits,_Z14shuffle_kernelIL17shuffle_test_type0EhEvPT0_jjm,comdat
.Lfunc_end6:
	.size	_Z14shuffle_kernelIL17shuffle_test_type0EhEvPT0_jjm, .Lfunc_end6-_Z14shuffle_kernelIL17shuffle_test_type0EhEvPT0_jjm
                                        ; -- End function
	.section	.AMDGPU.csdata,"",@progbits
; Kernel info:
; codeLenInByte = 200
; NumSgprs: 18
; NumVgprs: 6
; ScratchSize: 0
; MemoryBound: 0
; FloatMode: 240
; IeeeMode: 1
; LDSByteSize: 0 bytes/workgroup (compile time only)
; SGPRBlocks: 2
; VGPRBlocks: 0
; NumSGPRsForWavesPerEU: 18
; NumVGPRsForWavesPerEU: 6
; Occupancy: 16
; WaveLimiterHint : 0
; COMPUTE_PGM_RSRC2:SCRATCH_EN: 0
; COMPUTE_PGM_RSRC2:USER_SGPR: 15
; COMPUTE_PGM_RSRC2:TRAP_HANDLER: 0
; COMPUTE_PGM_RSRC2:TGID_X_EN: 1
; COMPUTE_PGM_RSRC2:TGID_Y_EN: 0
; COMPUTE_PGM_RSRC2:TGID_Z_EN: 0
; COMPUTE_PGM_RSRC2:TIDIG_COMP_CNT: 0
	.section	.text._Z14shuffle_kernelIL17shuffle_test_type0EdEvPT0_jjm,"axG",@progbits,_Z14shuffle_kernelIL17shuffle_test_type0EdEvPT0_jjm,comdat
	.protected	_Z14shuffle_kernelIL17shuffle_test_type0EdEvPT0_jjm ; -- Begin function _Z14shuffle_kernelIL17shuffle_test_type0EdEvPT0_jjm
	.globl	_Z14shuffle_kernelIL17shuffle_test_type0EdEvPT0_jjm
	.p2align	8
	.type	_Z14shuffle_kernelIL17shuffle_test_type0EdEvPT0_jjm,@function
_Z14shuffle_kernelIL17shuffle_test_type0EdEvPT0_jjm: ; @_Z14shuffle_kernelIL17shuffle_test_type0EdEvPT0_jjm
; %bb.0:
	s_clause 0x2
	s_load_b32 s4, s[0:1], 0x24
	s_load_b32 s5, s[0:1], 0x10
	s_load_b64 s[2:3], s[0:1], 0x0
	v_mbcnt_lo_u32_b32 v4, -1, 0
	s_waitcnt lgkmcnt(0)
	s_and_b32 s4, s4, 0xffff
	s_delay_alu instid0(SALU_CYCLE_1) | instskip(NEXT) | instid1(VALU_DEP_2)
	v_mad_u64_u32 v[1:2], null, s15, s4, v[0:1]
	v_lshrrev_b32_e64 v0, v4, s5
	v_mov_b32_e32 v2, 0
	s_mov_b32 s4, 0
	s_mov_b32 s5, 0x40654000
	s_delay_alu instid0(VALU_DEP_2) | instskip(NEXT) | instid1(VALU_DEP_2)
	v_and_b32_e32 v3, 1, v0
	v_lshlrev_b64 v[0:1], 3, v[1:2]
	s_delay_alu instid0(VALU_DEP_2) | instskip(SKIP_1) | instid1(VALU_DEP_3)
	v_cmp_eq_u32_e32 vcc_lo, 1, v3
	v_dual_mov_b32 v2, s4 :: v_dual_mov_b32 v3, s5
	v_add_co_u32 v0, s2, s2, v0
	s_delay_alu instid0(VALU_DEP_1)
	v_add_co_ci_u32_e64 v1, s2, s3, v1, s2
	s_and_saveexec_b32 s2, vcc_lo
	s_cbranch_execz .LBB7_2
; %bb.1:
	global_load_b64 v[2:3], v[0:1], off
	s_load_b64 s[0:1], s[0:1], 0x8
	s_waitcnt lgkmcnt(0)
	s_sub_i32 s1, 0, s1
	v_subrev_nc_u32_e32 v5, s0, v4
	v_and_b32_e32 v6, s1, v4
	s_delay_alu instid0(VALU_DEP_1) | instskip(SKIP_1) | instid1(VALU_DEP_1)
	v_cmp_lt_i32_e32 vcc_lo, v5, v6
	v_cndmask_b32_e32 v4, v5, v4, vcc_lo
	v_lshlrev_b32_e32 v4, 2, v4
	s_waitcnt vmcnt(0)
	ds_bpermute_b32 v2, v4, v2
	ds_bpermute_b32 v3, v4, v3
.LBB7_2:
	s_or_b32 exec_lo, exec_lo, s2
	s_waitcnt lgkmcnt(0)
	global_store_b64 v[0:1], v[2:3], off
	s_nop 0
	s_sendmsg sendmsg(MSG_DEALLOC_VGPRS)
	s_endpgm
	.section	.rodata,"a",@progbits
	.p2align	6, 0x0
	.amdhsa_kernel _Z14shuffle_kernelIL17shuffle_test_type0EdEvPT0_jjm
		.amdhsa_group_segment_fixed_size 0
		.amdhsa_private_segment_fixed_size 0
		.amdhsa_kernarg_size 280
		.amdhsa_user_sgpr_count 15
		.amdhsa_user_sgpr_dispatch_ptr 0
		.amdhsa_user_sgpr_queue_ptr 0
		.amdhsa_user_sgpr_kernarg_segment_ptr 1
		.amdhsa_user_sgpr_dispatch_id 0
		.amdhsa_user_sgpr_private_segment_size 0
		.amdhsa_wavefront_size32 1
		.amdhsa_uses_dynamic_stack 0
		.amdhsa_enable_private_segment 0
		.amdhsa_system_sgpr_workgroup_id_x 1
		.amdhsa_system_sgpr_workgroup_id_y 0
		.amdhsa_system_sgpr_workgroup_id_z 0
		.amdhsa_system_sgpr_workgroup_info 0
		.amdhsa_system_vgpr_workitem_id 0
		.amdhsa_next_free_vgpr 7
		.amdhsa_next_free_sgpr 16
		.amdhsa_reserve_vcc 1
		.amdhsa_float_round_mode_32 0
		.amdhsa_float_round_mode_16_64 0
		.amdhsa_float_denorm_mode_32 3
		.amdhsa_float_denorm_mode_16_64 3
		.amdhsa_dx10_clamp 1
		.amdhsa_ieee_mode 1
		.amdhsa_fp16_overflow 0
		.amdhsa_workgroup_processor_mode 1
		.amdhsa_memory_ordered 1
		.amdhsa_forward_progress 0
		.amdhsa_shared_vgpr_count 0
		.amdhsa_exception_fp_ieee_invalid_op 0
		.amdhsa_exception_fp_denorm_src 0
		.amdhsa_exception_fp_ieee_div_zero 0
		.amdhsa_exception_fp_ieee_overflow 0
		.amdhsa_exception_fp_ieee_underflow 0
		.amdhsa_exception_fp_ieee_inexact 0
		.amdhsa_exception_int_div_zero 0
	.end_amdhsa_kernel
	.section	.text._Z14shuffle_kernelIL17shuffle_test_type0EdEvPT0_jjm,"axG",@progbits,_Z14shuffle_kernelIL17shuffle_test_type0EdEvPT0_jjm,comdat
.Lfunc_end7:
	.size	_Z14shuffle_kernelIL17shuffle_test_type0EdEvPT0_jjm, .Lfunc_end7-_Z14shuffle_kernelIL17shuffle_test_type0EdEvPT0_jjm
                                        ; -- End function
	.section	.AMDGPU.csdata,"",@progbits
; Kernel info:
; codeLenInByte = 240
; NumSgprs: 18
; NumVgprs: 7
; ScratchSize: 0
; MemoryBound: 0
; FloatMode: 240
; IeeeMode: 1
; LDSByteSize: 0 bytes/workgroup (compile time only)
; SGPRBlocks: 2
; VGPRBlocks: 0
; NumSGPRsForWavesPerEU: 18
; NumVGPRsForWavesPerEU: 7
; Occupancy: 16
; WaveLimiterHint : 0
; COMPUTE_PGM_RSRC2:SCRATCH_EN: 0
; COMPUTE_PGM_RSRC2:USER_SGPR: 15
; COMPUTE_PGM_RSRC2:TRAP_HANDLER: 0
; COMPUTE_PGM_RSRC2:TGID_X_EN: 1
; COMPUTE_PGM_RSRC2:TGID_Y_EN: 0
; COMPUTE_PGM_RSRC2:TGID_Z_EN: 0
; COMPUTE_PGM_RSRC2:TIDIG_COMP_CNT: 0
	.section	.text._Z14shuffle_kernelIL17shuffle_test_type0EfEvPT0_jjm,"axG",@progbits,_Z14shuffle_kernelIL17shuffle_test_type0EfEvPT0_jjm,comdat
	.protected	_Z14shuffle_kernelIL17shuffle_test_type0EfEvPT0_jjm ; -- Begin function _Z14shuffle_kernelIL17shuffle_test_type0EfEvPT0_jjm
	.globl	_Z14shuffle_kernelIL17shuffle_test_type0EfEvPT0_jjm
	.p2align	8
	.type	_Z14shuffle_kernelIL17shuffle_test_type0EfEvPT0_jjm,@function
_Z14shuffle_kernelIL17shuffle_test_type0EfEvPT0_jjm: ; @_Z14shuffle_kernelIL17shuffle_test_type0EfEvPT0_jjm
; %bb.0:
	s_clause 0x2
	s_load_b32 s4, s[0:1], 0x24
	s_load_b32 s5, s[0:1], 0x10
	s_load_b64 s[2:3], s[0:1], 0x0
	v_mbcnt_lo_u32_b32 v2, -1, 0
	s_waitcnt lgkmcnt(0)
	s_and_b32 s4, s4, 0xffff
	s_delay_alu instid0(SALU_CYCLE_1) | instskip(NEXT) | instid1(VALU_DEP_2)
	v_mad_u64_u32 v[3:4], null, s15, s4, v[0:1]
	v_lshrrev_b32_e64 v0, v2, s5
	s_delay_alu instid0(VALU_DEP_1) | instskip(NEXT) | instid1(VALU_DEP_1)
	v_dual_mov_b32 v4, 0 :: v_dual_and_b32 v5, 1, v0
	v_lshlrev_b64 v[0:1], 2, v[3:4]
	v_mov_b32_e32 v3, 0x432a0000
	s_delay_alu instid0(VALU_DEP_2) | instskip(NEXT) | instid1(VALU_DEP_1)
	v_add_co_u32 v0, s2, s2, v0
	v_add_co_ci_u32_e64 v1, s2, s3, v1, s2
	s_mov_b32 s2, exec_lo
	v_cmpx_eq_u32_e32 1, v5
	s_cbranch_execz .LBB8_2
; %bb.1:
	global_load_b32 v3, v[0:1], off
	s_load_b64 s[0:1], s[0:1], 0x8
	s_waitcnt lgkmcnt(0)
	s_sub_i32 s1, 0, s1
	v_subrev_nc_u32_e32 v4, s0, v2
	v_and_b32_e32 v5, s1, v2
	s_delay_alu instid0(VALU_DEP_1) | instskip(SKIP_1) | instid1(VALU_DEP_1)
	v_cmp_lt_i32_e32 vcc_lo, v4, v5
	v_cndmask_b32_e32 v2, v4, v2, vcc_lo
	v_lshlrev_b32_e32 v2, 2, v2
	s_waitcnt vmcnt(0)
	ds_bpermute_b32 v3, v2, v3
.LBB8_2:
	s_or_b32 exec_lo, exec_lo, s2
	s_waitcnt lgkmcnt(0)
	global_store_b32 v[0:1], v3, off
	s_nop 0
	s_sendmsg sendmsg(MSG_DEALLOC_VGPRS)
	s_endpgm
	.section	.rodata,"a",@progbits
	.p2align	6, 0x0
	.amdhsa_kernel _Z14shuffle_kernelIL17shuffle_test_type0EfEvPT0_jjm
		.amdhsa_group_segment_fixed_size 0
		.amdhsa_private_segment_fixed_size 0
		.amdhsa_kernarg_size 280
		.amdhsa_user_sgpr_count 15
		.amdhsa_user_sgpr_dispatch_ptr 0
		.amdhsa_user_sgpr_queue_ptr 0
		.amdhsa_user_sgpr_kernarg_segment_ptr 1
		.amdhsa_user_sgpr_dispatch_id 0
		.amdhsa_user_sgpr_private_segment_size 0
		.amdhsa_wavefront_size32 1
		.amdhsa_uses_dynamic_stack 0
		.amdhsa_enable_private_segment 0
		.amdhsa_system_sgpr_workgroup_id_x 1
		.amdhsa_system_sgpr_workgroup_id_y 0
		.amdhsa_system_sgpr_workgroup_id_z 0
		.amdhsa_system_sgpr_workgroup_info 0
		.amdhsa_system_vgpr_workitem_id 0
		.amdhsa_next_free_vgpr 6
		.amdhsa_next_free_sgpr 16
		.amdhsa_reserve_vcc 1
		.amdhsa_float_round_mode_32 0
		.amdhsa_float_round_mode_16_64 0
		.amdhsa_float_denorm_mode_32 3
		.amdhsa_float_denorm_mode_16_64 3
		.amdhsa_dx10_clamp 1
		.amdhsa_ieee_mode 1
		.amdhsa_fp16_overflow 0
		.amdhsa_workgroup_processor_mode 1
		.amdhsa_memory_ordered 1
		.amdhsa_forward_progress 0
		.amdhsa_shared_vgpr_count 0
		.amdhsa_exception_fp_ieee_invalid_op 0
		.amdhsa_exception_fp_denorm_src 0
		.amdhsa_exception_fp_ieee_div_zero 0
		.amdhsa_exception_fp_ieee_overflow 0
		.amdhsa_exception_fp_ieee_underflow 0
		.amdhsa_exception_fp_ieee_inexact 0
		.amdhsa_exception_int_div_zero 0
	.end_amdhsa_kernel
	.section	.text._Z14shuffle_kernelIL17shuffle_test_type0EfEvPT0_jjm,"axG",@progbits,_Z14shuffle_kernelIL17shuffle_test_type0EfEvPT0_jjm,comdat
.Lfunc_end8:
	.size	_Z14shuffle_kernelIL17shuffle_test_type0EfEvPT0_jjm, .Lfunc_end8-_Z14shuffle_kernelIL17shuffle_test_type0EfEvPT0_jjm
                                        ; -- End function
	.section	.AMDGPU.csdata,"",@progbits
; Kernel info:
; codeLenInByte = 216
; NumSgprs: 18
; NumVgprs: 6
; ScratchSize: 0
; MemoryBound: 0
; FloatMode: 240
; IeeeMode: 1
; LDSByteSize: 0 bytes/workgroup (compile time only)
; SGPRBlocks: 2
; VGPRBlocks: 0
; NumSGPRsForWavesPerEU: 18
; NumVGPRsForWavesPerEU: 6
; Occupancy: 16
; WaveLimiterHint : 0
; COMPUTE_PGM_RSRC2:SCRATCH_EN: 0
; COMPUTE_PGM_RSRC2:USER_SGPR: 15
; COMPUTE_PGM_RSRC2:TRAP_HANDLER: 0
; COMPUTE_PGM_RSRC2:TGID_X_EN: 1
; COMPUTE_PGM_RSRC2:TGID_Y_EN: 0
; COMPUTE_PGM_RSRC2:TGID_Z_EN: 0
; COMPUTE_PGM_RSRC2:TIDIG_COMP_CNT: 0
	.section	.text._Z14shuffle_kernelIL17shuffle_test_type0EiEvPT0_jjm,"axG",@progbits,_Z14shuffle_kernelIL17shuffle_test_type0EiEvPT0_jjm,comdat
	.protected	_Z14shuffle_kernelIL17shuffle_test_type0EiEvPT0_jjm ; -- Begin function _Z14shuffle_kernelIL17shuffle_test_type0EiEvPT0_jjm
	.globl	_Z14shuffle_kernelIL17shuffle_test_type0EiEvPT0_jjm
	.p2align	8
	.type	_Z14shuffle_kernelIL17shuffle_test_type0EiEvPT0_jjm,@function
_Z14shuffle_kernelIL17shuffle_test_type0EiEvPT0_jjm: ; @_Z14shuffle_kernelIL17shuffle_test_type0EiEvPT0_jjm
; %bb.0:
	s_clause 0x2
	s_load_b32 s4, s[0:1], 0x24
	s_load_b32 s5, s[0:1], 0x10
	s_load_b64 s[2:3], s[0:1], 0x0
	v_mbcnt_lo_u32_b32 v2, -1, 0
	s_waitcnt lgkmcnt(0)
	s_and_b32 s4, s4, 0xffff
	s_delay_alu instid0(SALU_CYCLE_1) | instskip(NEXT) | instid1(VALU_DEP_2)
	v_mad_u64_u32 v[3:4], null, s15, s4, v[0:1]
	v_lshrrev_b32_e64 v0, v2, s5
	s_delay_alu instid0(VALU_DEP_1) | instskip(NEXT) | instid1(VALU_DEP_1)
	v_dual_mov_b32 v4, 0 :: v_dual_and_b32 v5, 1, v0
	v_lshlrev_b64 v[0:1], 2, v[3:4]
	v_mov_b32_e32 v3, 0xaa
	s_delay_alu instid0(VALU_DEP_2) | instskip(NEXT) | instid1(VALU_DEP_1)
	v_add_co_u32 v0, s2, s2, v0
	v_add_co_ci_u32_e64 v1, s2, s3, v1, s2
	s_mov_b32 s2, exec_lo
	v_cmpx_eq_u32_e32 1, v5
	s_cbranch_execz .LBB9_2
; %bb.1:
	global_load_b32 v3, v[0:1], off
	s_load_b64 s[0:1], s[0:1], 0x8
	s_waitcnt lgkmcnt(0)
	s_sub_i32 s1, 0, s1
	v_subrev_nc_u32_e32 v4, s0, v2
	v_and_b32_e32 v5, s1, v2
	s_delay_alu instid0(VALU_DEP_1) | instskip(SKIP_1) | instid1(VALU_DEP_1)
	v_cmp_lt_i32_e32 vcc_lo, v4, v5
	v_cndmask_b32_e32 v2, v4, v2, vcc_lo
	v_lshlrev_b32_e32 v2, 2, v2
	s_waitcnt vmcnt(0)
	ds_bpermute_b32 v3, v2, v3
.LBB9_2:
	s_or_b32 exec_lo, exec_lo, s2
	s_waitcnt lgkmcnt(0)
	global_store_b32 v[0:1], v3, off
	s_nop 0
	s_sendmsg sendmsg(MSG_DEALLOC_VGPRS)
	s_endpgm
	.section	.rodata,"a",@progbits
	.p2align	6, 0x0
	.amdhsa_kernel _Z14shuffle_kernelIL17shuffle_test_type0EiEvPT0_jjm
		.amdhsa_group_segment_fixed_size 0
		.amdhsa_private_segment_fixed_size 0
		.amdhsa_kernarg_size 280
		.amdhsa_user_sgpr_count 15
		.amdhsa_user_sgpr_dispatch_ptr 0
		.amdhsa_user_sgpr_queue_ptr 0
		.amdhsa_user_sgpr_kernarg_segment_ptr 1
		.amdhsa_user_sgpr_dispatch_id 0
		.amdhsa_user_sgpr_private_segment_size 0
		.amdhsa_wavefront_size32 1
		.amdhsa_uses_dynamic_stack 0
		.amdhsa_enable_private_segment 0
		.amdhsa_system_sgpr_workgroup_id_x 1
		.amdhsa_system_sgpr_workgroup_id_y 0
		.amdhsa_system_sgpr_workgroup_id_z 0
		.amdhsa_system_sgpr_workgroup_info 0
		.amdhsa_system_vgpr_workitem_id 0
		.amdhsa_next_free_vgpr 6
		.amdhsa_next_free_sgpr 16
		.amdhsa_reserve_vcc 1
		.amdhsa_float_round_mode_32 0
		.amdhsa_float_round_mode_16_64 0
		.amdhsa_float_denorm_mode_32 3
		.amdhsa_float_denorm_mode_16_64 3
		.amdhsa_dx10_clamp 1
		.amdhsa_ieee_mode 1
		.amdhsa_fp16_overflow 0
		.amdhsa_workgroup_processor_mode 1
		.amdhsa_memory_ordered 1
		.amdhsa_forward_progress 0
		.amdhsa_shared_vgpr_count 0
		.amdhsa_exception_fp_ieee_invalid_op 0
		.amdhsa_exception_fp_denorm_src 0
		.amdhsa_exception_fp_ieee_div_zero 0
		.amdhsa_exception_fp_ieee_overflow 0
		.amdhsa_exception_fp_ieee_underflow 0
		.amdhsa_exception_fp_ieee_inexact 0
		.amdhsa_exception_int_div_zero 0
	.end_amdhsa_kernel
	.section	.text._Z14shuffle_kernelIL17shuffle_test_type0EiEvPT0_jjm,"axG",@progbits,_Z14shuffle_kernelIL17shuffle_test_type0EiEvPT0_jjm,comdat
.Lfunc_end9:
	.size	_Z14shuffle_kernelIL17shuffle_test_type0EiEvPT0_jjm, .Lfunc_end9-_Z14shuffle_kernelIL17shuffle_test_type0EiEvPT0_jjm
                                        ; -- End function
	.section	.AMDGPU.csdata,"",@progbits
; Kernel info:
; codeLenInByte = 216
; NumSgprs: 18
; NumVgprs: 6
; ScratchSize: 0
; MemoryBound: 0
; FloatMode: 240
; IeeeMode: 1
; LDSByteSize: 0 bytes/workgroup (compile time only)
; SGPRBlocks: 2
; VGPRBlocks: 0
; NumSGPRsForWavesPerEU: 18
; NumVGPRsForWavesPerEU: 6
; Occupancy: 16
; WaveLimiterHint : 0
; COMPUTE_PGM_RSRC2:SCRATCH_EN: 0
; COMPUTE_PGM_RSRC2:USER_SGPR: 15
; COMPUTE_PGM_RSRC2:TRAP_HANDLER: 0
; COMPUTE_PGM_RSRC2:TGID_X_EN: 1
; COMPUTE_PGM_RSRC2:TGID_Y_EN: 0
; COMPUTE_PGM_RSRC2:TGID_Z_EN: 0
; COMPUTE_PGM_RSRC2:TIDIG_COMP_CNT: 0
	.section	.text._Z14shuffle_kernelIL17shuffle_test_type1E16custom_16alignedEvPT0_jjm,"axG",@progbits,_Z14shuffle_kernelIL17shuffle_test_type1E16custom_16alignedEvPT0_jjm,comdat
	.protected	_Z14shuffle_kernelIL17shuffle_test_type1E16custom_16alignedEvPT0_jjm ; -- Begin function _Z14shuffle_kernelIL17shuffle_test_type1E16custom_16alignedEvPT0_jjm
	.globl	_Z14shuffle_kernelIL17shuffle_test_type1E16custom_16alignedEvPT0_jjm
	.p2align	8
	.type	_Z14shuffle_kernelIL17shuffle_test_type1E16custom_16alignedEvPT0_jjm,@function
_Z14shuffle_kernelIL17shuffle_test_type1E16custom_16alignedEvPT0_jjm: ; @_Z14shuffle_kernelIL17shuffle_test_type1E16custom_16alignedEvPT0_jjm
; %bb.0:
	s_clause 0x2
	s_load_b32 s4, s[0:1], 0x24
	s_load_b32 s5, s[0:1], 0x10
	s_load_b64 s[2:3], s[0:1], 0x0
	v_mbcnt_lo_u32_b32 v5, -1, 0
	s_waitcnt lgkmcnt(0)
	s_and_b32 s4, s4, 0xffff
	s_delay_alu instid0(SALU_CYCLE_1) | instskip(SKIP_2) | instid1(VALU_DEP_1)
	v_mad_u64_u32 v[1:2], null, s15, s4, v[0:1]
	v_mov_b32_e32 v2, 0
	v_lshrrev_b32_e64 v0, v5, s5
	v_and_b32_e32 v6, 1, v0
	s_delay_alu instid0(VALU_DEP_3) | instskip(SKIP_2) | instid1(VALU_DEP_3)
	v_lshlrev_b64 v[3:4], 4, v[1:2]
	v_dual_mov_b32 v1, 0xaa :: v_dual_mov_b32 v0, 0xaa
	v_mov_b32_e32 v2, 0x432a0000
	v_add_co_u32 v3, s2, s2, v3
	s_delay_alu instid0(VALU_DEP_1)
	v_add_co_ci_u32_e64 v4, s2, s3, v4, s2
	s_mov_b32 s2, exec_lo
	v_cmpx_eq_u32_e32 1, v6
	s_cbranch_execz .LBB10_2
; %bb.1:
	global_load_b128 v[6:9], v[3:4], off
	s_load_b64 s[0:1], s[0:1], 0x8
	s_waitcnt lgkmcnt(0)
	s_add_i32 s3, s1, -1
	s_delay_alu instid0(SALU_CYCLE_1) | instskip(NEXT) | instid1(VALU_DEP_1)
	v_and_b32_e32 v0, s3, v5
	v_add_nc_u32_e32 v0, s0, v0
	s_delay_alu instid0(VALU_DEP_1) | instskip(SKIP_1) | instid1(VALU_DEP_1)
	v_cmp_gt_i32_e32 vcc_lo, s1, v0
	v_cndmask_b32_e64 v0, 0, s0, vcc_lo
	v_add_lshl_u32 v2, v0, v5, 2
	s_waitcnt vmcnt(0)
	ds_bpermute_b32 v0, v2, v6
	ds_bpermute_b32 v1, v2, v7
	;; [unrolled: 1-line block ×3, first 2 shown]
.LBB10_2:
	s_or_b32 exec_lo, exec_lo, s2
	s_waitcnt lgkmcnt(0)
	global_store_b96 v[3:4], v[0:2], off
	s_nop 0
	s_sendmsg sendmsg(MSG_DEALLOC_VGPRS)
	s_endpgm
	.section	.rodata,"a",@progbits
	.p2align	6, 0x0
	.amdhsa_kernel _Z14shuffle_kernelIL17shuffle_test_type1E16custom_16alignedEvPT0_jjm
		.amdhsa_group_segment_fixed_size 0
		.amdhsa_private_segment_fixed_size 0
		.amdhsa_kernarg_size 280
		.amdhsa_user_sgpr_count 15
		.amdhsa_user_sgpr_dispatch_ptr 0
		.amdhsa_user_sgpr_queue_ptr 0
		.amdhsa_user_sgpr_kernarg_segment_ptr 1
		.amdhsa_user_sgpr_dispatch_id 0
		.amdhsa_user_sgpr_private_segment_size 0
		.amdhsa_wavefront_size32 1
		.amdhsa_uses_dynamic_stack 0
		.amdhsa_enable_private_segment 0
		.amdhsa_system_sgpr_workgroup_id_x 1
		.amdhsa_system_sgpr_workgroup_id_y 0
		.amdhsa_system_sgpr_workgroup_id_z 0
		.amdhsa_system_sgpr_workgroup_info 0
		.amdhsa_system_vgpr_workitem_id 0
		.amdhsa_next_free_vgpr 10
		.amdhsa_next_free_sgpr 16
		.amdhsa_reserve_vcc 1
		.amdhsa_float_round_mode_32 0
		.amdhsa_float_round_mode_16_64 0
		.amdhsa_float_denorm_mode_32 3
		.amdhsa_float_denorm_mode_16_64 3
		.amdhsa_dx10_clamp 1
		.amdhsa_ieee_mode 1
		.amdhsa_fp16_overflow 0
		.amdhsa_workgroup_processor_mode 1
		.amdhsa_memory_ordered 1
		.amdhsa_forward_progress 0
		.amdhsa_shared_vgpr_count 0
		.amdhsa_exception_fp_ieee_invalid_op 0
		.amdhsa_exception_fp_denorm_src 0
		.amdhsa_exception_fp_ieee_div_zero 0
		.amdhsa_exception_fp_ieee_overflow 0
		.amdhsa_exception_fp_ieee_underflow 0
		.amdhsa_exception_fp_ieee_inexact 0
		.amdhsa_exception_int_div_zero 0
	.end_amdhsa_kernel
	.section	.text._Z14shuffle_kernelIL17shuffle_test_type1E16custom_16alignedEvPT0_jjm,"axG",@progbits,_Z14shuffle_kernelIL17shuffle_test_type1E16custom_16alignedEvPT0_jjm,comdat
.Lfunc_end10:
	.size	_Z14shuffle_kernelIL17shuffle_test_type1E16custom_16alignedEvPT0_jjm, .Lfunc_end10-_Z14shuffle_kernelIL17shuffle_test_type1E16custom_16alignedEvPT0_jjm
                                        ; -- End function
	.section	.AMDGPU.csdata,"",@progbits
; Kernel info:
; codeLenInByte = 256
; NumSgprs: 18
; NumVgprs: 10
; ScratchSize: 0
; MemoryBound: 0
; FloatMode: 240
; IeeeMode: 1
; LDSByteSize: 0 bytes/workgroup (compile time only)
; SGPRBlocks: 2
; VGPRBlocks: 1
; NumSGPRsForWavesPerEU: 18
; NumVGPRsForWavesPerEU: 10
; Occupancy: 16
; WaveLimiterHint : 0
; COMPUTE_PGM_RSRC2:SCRATCH_EN: 0
; COMPUTE_PGM_RSRC2:USER_SGPR: 15
; COMPUTE_PGM_RSRC2:TRAP_HANDLER: 0
; COMPUTE_PGM_RSRC2:TGID_X_EN: 1
; COMPUTE_PGM_RSRC2:TGID_Y_EN: 0
; COMPUTE_PGM_RSRC2:TGID_Z_EN: 0
; COMPUTE_PGM_RSRC2:TIDIG_COMP_CNT: 0
	.section	.text._Z14shuffle_kernelIL17shuffle_test_type1E17custom_notalignedEvPT0_jjm,"axG",@progbits,_Z14shuffle_kernelIL17shuffle_test_type1E17custom_notalignedEvPT0_jjm,comdat
	.protected	_Z14shuffle_kernelIL17shuffle_test_type1E17custom_notalignedEvPT0_jjm ; -- Begin function _Z14shuffle_kernelIL17shuffle_test_type1E17custom_notalignedEvPT0_jjm
	.globl	_Z14shuffle_kernelIL17shuffle_test_type1E17custom_notalignedEvPT0_jjm
	.p2align	8
	.type	_Z14shuffle_kernelIL17shuffle_test_type1E17custom_notalignedEvPT0_jjm,@function
_Z14shuffle_kernelIL17shuffle_test_type1E17custom_notalignedEvPT0_jjm: ; @_Z14shuffle_kernelIL17shuffle_test_type1E17custom_notalignedEvPT0_jjm
; %bb.0:
	s_clause 0x2
	s_load_b32 s4, s[0:1], 0x24
	s_load_b32 s5, s[0:1], 0x10
	s_load_b64 s[2:3], s[0:1], 0x0
	v_mbcnt_lo_u32_b32 v7, -1, 0
	v_mov_b32_e32 v6, 0xaa
	s_waitcnt lgkmcnt(0)
	s_and_b32 s4, s4, 0xffff
	s_delay_alu instid0(VALU_DEP_2) | instskip(SKIP_2) | instid1(VALU_DEP_3)
	v_lshrrev_b32_e64 v3, v7, s5
	v_mad_u64_u32 v[1:2], null, s15, s4, v[0:1]
	v_mov_b32_e32 v2, 0x432a0000
	v_dual_mov_b32 v3, 0xaa :: v_dual_and_b32 v0, 1, v3
	s_delay_alu instid0(VALU_DEP_3) | instskip(NEXT) | instid1(VALU_DEP_2)
	v_mad_u64_u32 v[4:5], null, v1, 24, s[2:3]
	v_cmp_eq_u32_e32 vcc_lo, 1, v0
	v_mov_b32_e32 v0, 0
	v_mov_b32_e32 v1, 0x40654000
	s_and_saveexec_b32 s2, vcc_lo
	s_cbranch_execz .LBB11_2
; %bb.1:
	s_clause 0x1
	global_load_b32 v6, v[4:5], off
	global_load_b128 v[0:3], v[4:5], off offset:8
	s_load_b64 s[0:1], s[0:1], 0x8
	s_waitcnt lgkmcnt(0)
	s_add_i32 s3, s1, -1
	s_delay_alu instid0(SALU_CYCLE_1) | instskip(NEXT) | instid1(VALU_DEP_1)
	v_and_b32_e32 v8, s3, v7
	v_add_nc_u32_e32 v8, s0, v8
	s_delay_alu instid0(VALU_DEP_1) | instskip(SKIP_1) | instid1(VALU_DEP_1)
	v_cmp_gt_i32_e32 vcc_lo, s1, v8
	v_cndmask_b32_e64 v8, 0, s0, vcc_lo
	v_add_lshl_u32 v7, v8, v7, 2
	s_waitcnt vmcnt(1)
	ds_bpermute_b32 v6, v7, v6
	s_waitcnt vmcnt(0)
	ds_bpermute_b32 v0, v7, v0
	ds_bpermute_b32 v1, v7, v1
	;; [unrolled: 1-line block ×4, first 2 shown]
.LBB11_2:
	s_or_b32 exec_lo, exec_lo, s2
	s_waitcnt lgkmcnt(4)
	global_store_b16 v[4:5], v6, off
	s_waitcnt lgkmcnt(0)
	global_store_b128 v[4:5], v[0:3], off offset:8
	s_nop 0
	s_sendmsg sendmsg(MSG_DEALLOC_VGPRS)
	s_endpgm
	.section	.rodata,"a",@progbits
	.p2align	6, 0x0
	.amdhsa_kernel _Z14shuffle_kernelIL17shuffle_test_type1E17custom_notalignedEvPT0_jjm
		.amdhsa_group_segment_fixed_size 0
		.amdhsa_private_segment_fixed_size 0
		.amdhsa_kernarg_size 280
		.amdhsa_user_sgpr_count 15
		.amdhsa_user_sgpr_dispatch_ptr 0
		.amdhsa_user_sgpr_queue_ptr 0
		.amdhsa_user_sgpr_kernarg_segment_ptr 1
		.amdhsa_user_sgpr_dispatch_id 0
		.amdhsa_user_sgpr_private_segment_size 0
		.amdhsa_wavefront_size32 1
		.amdhsa_uses_dynamic_stack 0
		.amdhsa_enable_private_segment 0
		.amdhsa_system_sgpr_workgroup_id_x 1
		.amdhsa_system_sgpr_workgroup_id_y 0
		.amdhsa_system_sgpr_workgroup_id_z 0
		.amdhsa_system_sgpr_workgroup_info 0
		.amdhsa_system_vgpr_workitem_id 0
		.amdhsa_next_free_vgpr 9
		.amdhsa_next_free_sgpr 16
		.amdhsa_reserve_vcc 1
		.amdhsa_float_round_mode_32 0
		.amdhsa_float_round_mode_16_64 0
		.amdhsa_float_denorm_mode_32 3
		.amdhsa_float_denorm_mode_16_64 3
		.amdhsa_dx10_clamp 1
		.amdhsa_ieee_mode 1
		.amdhsa_fp16_overflow 0
		.amdhsa_workgroup_processor_mode 1
		.amdhsa_memory_ordered 1
		.amdhsa_forward_progress 0
		.amdhsa_shared_vgpr_count 0
		.amdhsa_exception_fp_ieee_invalid_op 0
		.amdhsa_exception_fp_denorm_src 0
		.amdhsa_exception_fp_ieee_div_zero 0
		.amdhsa_exception_fp_ieee_overflow 0
		.amdhsa_exception_fp_ieee_underflow 0
		.amdhsa_exception_fp_ieee_inexact 0
		.amdhsa_exception_int_div_zero 0
	.end_amdhsa_kernel
	.section	.text._Z14shuffle_kernelIL17shuffle_test_type1E17custom_notalignedEvPT0_jjm,"axG",@progbits,_Z14shuffle_kernelIL17shuffle_test_type1E17custom_notalignedEvPT0_jjm,comdat
.Lfunc_end11:
	.size	_Z14shuffle_kernelIL17shuffle_test_type1E17custom_notalignedEvPT0_jjm, .Lfunc_end11-_Z14shuffle_kernelIL17shuffle_test_type1E17custom_notalignedEvPT0_jjm
                                        ; -- End function
	.section	.AMDGPU.csdata,"",@progbits
; Kernel info:
; codeLenInByte = 292
; NumSgprs: 18
; NumVgprs: 9
; ScratchSize: 0
; MemoryBound: 0
; FloatMode: 240
; IeeeMode: 1
; LDSByteSize: 0 bytes/workgroup (compile time only)
; SGPRBlocks: 2
; VGPRBlocks: 1
; NumSGPRsForWavesPerEU: 18
; NumVGPRsForWavesPerEU: 9
; Occupancy: 16
; WaveLimiterHint : 0
; COMPUTE_PGM_RSRC2:SCRATCH_EN: 0
; COMPUTE_PGM_RSRC2:USER_SGPR: 15
; COMPUTE_PGM_RSRC2:TRAP_HANDLER: 0
; COMPUTE_PGM_RSRC2:TGID_X_EN: 1
; COMPUTE_PGM_RSRC2:TGID_Y_EN: 0
; COMPUTE_PGM_RSRC2:TGID_Z_EN: 0
; COMPUTE_PGM_RSRC2:TIDIG_COMP_CNT: 0
	.section	.text._Z14shuffle_kernelIL17shuffle_test_type1EhEvPT0_jjm,"axG",@progbits,_Z14shuffle_kernelIL17shuffle_test_type1EhEvPT0_jjm,comdat
	.protected	_Z14shuffle_kernelIL17shuffle_test_type1EhEvPT0_jjm ; -- Begin function _Z14shuffle_kernelIL17shuffle_test_type1EhEvPT0_jjm
	.globl	_Z14shuffle_kernelIL17shuffle_test_type1EhEvPT0_jjm
	.p2align	8
	.type	_Z14shuffle_kernelIL17shuffle_test_type1EhEvPT0_jjm,@function
_Z14shuffle_kernelIL17shuffle_test_type1EhEvPT0_jjm: ; @_Z14shuffle_kernelIL17shuffle_test_type1EhEvPT0_jjm
; %bb.0:
	s_clause 0x2
	s_load_b32 s4, s[0:1], 0x24
	s_load_b32 s5, s[0:1], 0x10
	s_load_b64 s[2:3], s[0:1], 0x0
	v_mbcnt_lo_u32_b32 v2, -1, 0
	s_waitcnt lgkmcnt(0)
	s_and_b32 s4, s4, 0xffff
	s_delay_alu instid0(SALU_CYCLE_1) | instskip(NEXT) | instid1(VALU_DEP_2)
	v_mad_u64_u32 v[3:4], null, s15, s4, v[0:1]
	v_lshrrev_b32_e64 v0, v2, s5
	s_delay_alu instid0(VALU_DEP_1) | instskip(NEXT) | instid1(VALU_DEP_3)
	v_and_b32_e32 v4, 1, v0
	v_add_co_u32 v0, s2, s2, v3
	v_mov_b32_e32 v3, 0xaa
	v_add_co_ci_u32_e64 v1, null, s3, 0, s2
	s_mov_b32 s2, exec_lo
	v_cmpx_eq_u32_e32 1, v4
	s_cbranch_execz .LBB12_2
; %bb.1:
	global_load_u8 v3, v[0:1], off
	s_load_b64 s[0:1], s[0:1], 0x8
	s_waitcnt lgkmcnt(0)
	s_add_i32 s3, s1, -1
	s_delay_alu instid0(SALU_CYCLE_1) | instskip(NEXT) | instid1(VALU_DEP_1)
	v_and_b32_e32 v4, s3, v2
	v_add_nc_u32_e32 v4, s0, v4
	s_delay_alu instid0(VALU_DEP_1) | instskip(SKIP_1) | instid1(VALU_DEP_1)
	v_cmp_gt_i32_e32 vcc_lo, s1, v4
	v_cndmask_b32_e64 v4, 0, s0, vcc_lo
	v_add_lshl_u32 v2, v4, v2, 2
	s_waitcnt vmcnt(0)
	ds_bpermute_b32 v3, v2, v3
.LBB12_2:
	s_or_b32 exec_lo, exec_lo, s2
	s_waitcnt lgkmcnt(0)
	global_store_b8 v[0:1], v3, off
	s_nop 0
	s_sendmsg sendmsg(MSG_DEALLOC_VGPRS)
	s_endpgm
	.section	.rodata,"a",@progbits
	.p2align	6, 0x0
	.amdhsa_kernel _Z14shuffle_kernelIL17shuffle_test_type1EhEvPT0_jjm
		.amdhsa_group_segment_fixed_size 0
		.amdhsa_private_segment_fixed_size 0
		.amdhsa_kernarg_size 280
		.amdhsa_user_sgpr_count 15
		.amdhsa_user_sgpr_dispatch_ptr 0
		.amdhsa_user_sgpr_queue_ptr 0
		.amdhsa_user_sgpr_kernarg_segment_ptr 1
		.amdhsa_user_sgpr_dispatch_id 0
		.amdhsa_user_sgpr_private_segment_size 0
		.amdhsa_wavefront_size32 1
		.amdhsa_uses_dynamic_stack 0
		.amdhsa_enable_private_segment 0
		.amdhsa_system_sgpr_workgroup_id_x 1
		.amdhsa_system_sgpr_workgroup_id_y 0
		.amdhsa_system_sgpr_workgroup_id_z 0
		.amdhsa_system_sgpr_workgroup_info 0
		.amdhsa_system_vgpr_workitem_id 0
		.amdhsa_next_free_vgpr 5
		.amdhsa_next_free_sgpr 16
		.amdhsa_reserve_vcc 1
		.amdhsa_float_round_mode_32 0
		.amdhsa_float_round_mode_16_64 0
		.amdhsa_float_denorm_mode_32 3
		.amdhsa_float_denorm_mode_16_64 3
		.amdhsa_dx10_clamp 1
		.amdhsa_ieee_mode 1
		.amdhsa_fp16_overflow 0
		.amdhsa_workgroup_processor_mode 1
		.amdhsa_memory_ordered 1
		.amdhsa_forward_progress 0
		.amdhsa_shared_vgpr_count 0
		.amdhsa_exception_fp_ieee_invalid_op 0
		.amdhsa_exception_fp_denorm_src 0
		.amdhsa_exception_fp_ieee_div_zero 0
		.amdhsa_exception_fp_ieee_overflow 0
		.amdhsa_exception_fp_ieee_underflow 0
		.amdhsa_exception_fp_ieee_inexact 0
		.amdhsa_exception_int_div_zero 0
	.end_amdhsa_kernel
	.section	.text._Z14shuffle_kernelIL17shuffle_test_type1EhEvPT0_jjm,"axG",@progbits,_Z14shuffle_kernelIL17shuffle_test_type1EhEvPT0_jjm,comdat
.Lfunc_end12:
	.size	_Z14shuffle_kernelIL17shuffle_test_type1EhEvPT0_jjm, .Lfunc_end12-_Z14shuffle_kernelIL17shuffle_test_type1EhEvPT0_jjm
                                        ; -- End function
	.section	.AMDGPU.csdata,"",@progbits
; Kernel info:
; codeLenInByte = 212
; NumSgprs: 18
; NumVgprs: 5
; ScratchSize: 0
; MemoryBound: 0
; FloatMode: 240
; IeeeMode: 1
; LDSByteSize: 0 bytes/workgroup (compile time only)
; SGPRBlocks: 2
; VGPRBlocks: 0
; NumSGPRsForWavesPerEU: 18
; NumVGPRsForWavesPerEU: 5
; Occupancy: 16
; WaveLimiterHint : 0
; COMPUTE_PGM_RSRC2:SCRATCH_EN: 0
; COMPUTE_PGM_RSRC2:USER_SGPR: 15
; COMPUTE_PGM_RSRC2:TRAP_HANDLER: 0
; COMPUTE_PGM_RSRC2:TGID_X_EN: 1
; COMPUTE_PGM_RSRC2:TGID_Y_EN: 0
; COMPUTE_PGM_RSRC2:TGID_Z_EN: 0
; COMPUTE_PGM_RSRC2:TIDIG_COMP_CNT: 0
	.section	.text._Z14shuffle_kernelIL17shuffle_test_type1EdEvPT0_jjm,"axG",@progbits,_Z14shuffle_kernelIL17shuffle_test_type1EdEvPT0_jjm,comdat
	.protected	_Z14shuffle_kernelIL17shuffle_test_type1EdEvPT0_jjm ; -- Begin function _Z14shuffle_kernelIL17shuffle_test_type1EdEvPT0_jjm
	.globl	_Z14shuffle_kernelIL17shuffle_test_type1EdEvPT0_jjm
	.p2align	8
	.type	_Z14shuffle_kernelIL17shuffle_test_type1EdEvPT0_jjm,@function
_Z14shuffle_kernelIL17shuffle_test_type1EdEvPT0_jjm: ; @_Z14shuffle_kernelIL17shuffle_test_type1EdEvPT0_jjm
; %bb.0:
	s_clause 0x2
	s_load_b32 s4, s[0:1], 0x24
	s_load_b32 s5, s[0:1], 0x10
	s_load_b64 s[2:3], s[0:1], 0x0
	v_mbcnt_lo_u32_b32 v4, -1, 0
	s_waitcnt lgkmcnt(0)
	s_and_b32 s4, s4, 0xffff
	s_delay_alu instid0(SALU_CYCLE_1) | instskip(NEXT) | instid1(VALU_DEP_2)
	v_mad_u64_u32 v[1:2], null, s15, s4, v[0:1]
	v_lshrrev_b32_e64 v0, v4, s5
	v_mov_b32_e32 v2, 0
	s_mov_b32 s4, 0
	s_mov_b32 s5, 0x40654000
	s_delay_alu instid0(VALU_DEP_2) | instskip(NEXT) | instid1(VALU_DEP_2)
	v_and_b32_e32 v3, 1, v0
	v_lshlrev_b64 v[0:1], 3, v[1:2]
	s_delay_alu instid0(VALU_DEP_2) | instskip(SKIP_1) | instid1(VALU_DEP_3)
	v_cmp_eq_u32_e32 vcc_lo, 1, v3
	v_dual_mov_b32 v2, s4 :: v_dual_mov_b32 v3, s5
	v_add_co_u32 v0, s2, s2, v0
	s_delay_alu instid0(VALU_DEP_1)
	v_add_co_ci_u32_e64 v1, s2, s3, v1, s2
	s_and_saveexec_b32 s2, vcc_lo
	s_cbranch_execz .LBB13_2
; %bb.1:
	global_load_b64 v[2:3], v[0:1], off
	s_load_b64 s[0:1], s[0:1], 0x8
	s_waitcnt lgkmcnt(0)
	s_add_i32 s3, s1, -1
	s_delay_alu instid0(SALU_CYCLE_1) | instskip(NEXT) | instid1(VALU_DEP_1)
	v_and_b32_e32 v5, s3, v4
	v_add_nc_u32_e32 v5, s0, v5
	s_delay_alu instid0(VALU_DEP_1) | instskip(SKIP_1) | instid1(VALU_DEP_1)
	v_cmp_gt_i32_e32 vcc_lo, s1, v5
	v_cndmask_b32_e64 v5, 0, s0, vcc_lo
	v_add_lshl_u32 v4, v5, v4, 2
	s_waitcnt vmcnt(0)
	ds_bpermute_b32 v2, v4, v2
	ds_bpermute_b32 v3, v4, v3
.LBB13_2:
	s_or_b32 exec_lo, exec_lo, s2
	s_waitcnt lgkmcnt(0)
	global_store_b64 v[0:1], v[2:3], off
	s_nop 0
	s_sendmsg sendmsg(MSG_DEALLOC_VGPRS)
	s_endpgm
	.section	.rodata,"a",@progbits
	.p2align	6, 0x0
	.amdhsa_kernel _Z14shuffle_kernelIL17shuffle_test_type1EdEvPT0_jjm
		.amdhsa_group_segment_fixed_size 0
		.amdhsa_private_segment_fixed_size 0
		.amdhsa_kernarg_size 280
		.amdhsa_user_sgpr_count 15
		.amdhsa_user_sgpr_dispatch_ptr 0
		.amdhsa_user_sgpr_queue_ptr 0
		.amdhsa_user_sgpr_kernarg_segment_ptr 1
		.amdhsa_user_sgpr_dispatch_id 0
		.amdhsa_user_sgpr_private_segment_size 0
		.amdhsa_wavefront_size32 1
		.amdhsa_uses_dynamic_stack 0
		.amdhsa_enable_private_segment 0
		.amdhsa_system_sgpr_workgroup_id_x 1
		.amdhsa_system_sgpr_workgroup_id_y 0
		.amdhsa_system_sgpr_workgroup_id_z 0
		.amdhsa_system_sgpr_workgroup_info 0
		.amdhsa_system_vgpr_workitem_id 0
		.amdhsa_next_free_vgpr 6
		.amdhsa_next_free_sgpr 16
		.amdhsa_reserve_vcc 1
		.amdhsa_float_round_mode_32 0
		.amdhsa_float_round_mode_16_64 0
		.amdhsa_float_denorm_mode_32 3
		.amdhsa_float_denorm_mode_16_64 3
		.amdhsa_dx10_clamp 1
		.amdhsa_ieee_mode 1
		.amdhsa_fp16_overflow 0
		.amdhsa_workgroup_processor_mode 1
		.amdhsa_memory_ordered 1
		.amdhsa_forward_progress 0
		.amdhsa_shared_vgpr_count 0
		.amdhsa_exception_fp_ieee_invalid_op 0
		.amdhsa_exception_fp_denorm_src 0
		.amdhsa_exception_fp_ieee_div_zero 0
		.amdhsa_exception_fp_ieee_overflow 0
		.amdhsa_exception_fp_ieee_underflow 0
		.amdhsa_exception_fp_ieee_inexact 0
		.amdhsa_exception_int_div_zero 0
	.end_amdhsa_kernel
	.section	.text._Z14shuffle_kernelIL17shuffle_test_type1EdEvPT0_jjm,"axG",@progbits,_Z14shuffle_kernelIL17shuffle_test_type1EdEvPT0_jjm,comdat
.Lfunc_end13:
	.size	_Z14shuffle_kernelIL17shuffle_test_type1EdEvPT0_jjm, .Lfunc_end13-_Z14shuffle_kernelIL17shuffle_test_type1EdEvPT0_jjm
                                        ; -- End function
	.section	.AMDGPU.csdata,"",@progbits
; Kernel info:
; codeLenInByte = 252
; NumSgprs: 18
; NumVgprs: 6
; ScratchSize: 0
; MemoryBound: 0
; FloatMode: 240
; IeeeMode: 1
; LDSByteSize: 0 bytes/workgroup (compile time only)
; SGPRBlocks: 2
; VGPRBlocks: 0
; NumSGPRsForWavesPerEU: 18
; NumVGPRsForWavesPerEU: 6
; Occupancy: 16
; WaveLimiterHint : 0
; COMPUTE_PGM_RSRC2:SCRATCH_EN: 0
; COMPUTE_PGM_RSRC2:USER_SGPR: 15
; COMPUTE_PGM_RSRC2:TRAP_HANDLER: 0
; COMPUTE_PGM_RSRC2:TGID_X_EN: 1
; COMPUTE_PGM_RSRC2:TGID_Y_EN: 0
; COMPUTE_PGM_RSRC2:TGID_Z_EN: 0
; COMPUTE_PGM_RSRC2:TIDIG_COMP_CNT: 0
	.section	.text._Z14shuffle_kernelIL17shuffle_test_type1EfEvPT0_jjm,"axG",@progbits,_Z14shuffle_kernelIL17shuffle_test_type1EfEvPT0_jjm,comdat
	.protected	_Z14shuffle_kernelIL17shuffle_test_type1EfEvPT0_jjm ; -- Begin function _Z14shuffle_kernelIL17shuffle_test_type1EfEvPT0_jjm
	.globl	_Z14shuffle_kernelIL17shuffle_test_type1EfEvPT0_jjm
	.p2align	8
	.type	_Z14shuffle_kernelIL17shuffle_test_type1EfEvPT0_jjm,@function
_Z14shuffle_kernelIL17shuffle_test_type1EfEvPT0_jjm: ; @_Z14shuffle_kernelIL17shuffle_test_type1EfEvPT0_jjm
; %bb.0:
	s_clause 0x2
	s_load_b32 s4, s[0:1], 0x24
	s_load_b32 s5, s[0:1], 0x10
	s_load_b64 s[2:3], s[0:1], 0x0
	v_mbcnt_lo_u32_b32 v2, -1, 0
	s_waitcnt lgkmcnt(0)
	s_and_b32 s4, s4, 0xffff
	s_delay_alu instid0(SALU_CYCLE_1) | instskip(NEXT) | instid1(VALU_DEP_2)
	v_mad_u64_u32 v[3:4], null, s15, s4, v[0:1]
	v_lshrrev_b32_e64 v0, v2, s5
	s_delay_alu instid0(VALU_DEP_1) | instskip(NEXT) | instid1(VALU_DEP_1)
	v_dual_mov_b32 v4, 0 :: v_dual_and_b32 v5, 1, v0
	v_lshlrev_b64 v[0:1], 2, v[3:4]
	v_mov_b32_e32 v3, 0x432a0000
	s_delay_alu instid0(VALU_DEP_2) | instskip(NEXT) | instid1(VALU_DEP_1)
	v_add_co_u32 v0, s2, s2, v0
	v_add_co_ci_u32_e64 v1, s2, s3, v1, s2
	s_mov_b32 s2, exec_lo
	v_cmpx_eq_u32_e32 1, v5
	s_cbranch_execz .LBB14_2
; %bb.1:
	global_load_b32 v3, v[0:1], off
	s_load_b64 s[0:1], s[0:1], 0x8
	s_waitcnt lgkmcnt(0)
	s_add_i32 s3, s1, -1
	s_delay_alu instid0(SALU_CYCLE_1) | instskip(NEXT) | instid1(VALU_DEP_1)
	v_and_b32_e32 v4, s3, v2
	v_add_nc_u32_e32 v4, s0, v4
	s_delay_alu instid0(VALU_DEP_1) | instskip(SKIP_1) | instid1(VALU_DEP_1)
	v_cmp_gt_i32_e32 vcc_lo, s1, v4
	v_cndmask_b32_e64 v4, 0, s0, vcc_lo
	v_add_lshl_u32 v2, v4, v2, 2
	s_waitcnt vmcnt(0)
	ds_bpermute_b32 v3, v2, v3
.LBB14_2:
	s_or_b32 exec_lo, exec_lo, s2
	s_waitcnt lgkmcnt(0)
	global_store_b32 v[0:1], v3, off
	s_nop 0
	s_sendmsg sendmsg(MSG_DEALLOC_VGPRS)
	s_endpgm
	.section	.rodata,"a",@progbits
	.p2align	6, 0x0
	.amdhsa_kernel _Z14shuffle_kernelIL17shuffle_test_type1EfEvPT0_jjm
		.amdhsa_group_segment_fixed_size 0
		.amdhsa_private_segment_fixed_size 0
		.amdhsa_kernarg_size 280
		.amdhsa_user_sgpr_count 15
		.amdhsa_user_sgpr_dispatch_ptr 0
		.amdhsa_user_sgpr_queue_ptr 0
		.amdhsa_user_sgpr_kernarg_segment_ptr 1
		.amdhsa_user_sgpr_dispatch_id 0
		.amdhsa_user_sgpr_private_segment_size 0
		.amdhsa_wavefront_size32 1
		.amdhsa_uses_dynamic_stack 0
		.amdhsa_enable_private_segment 0
		.amdhsa_system_sgpr_workgroup_id_x 1
		.amdhsa_system_sgpr_workgroup_id_y 0
		.amdhsa_system_sgpr_workgroup_id_z 0
		.amdhsa_system_sgpr_workgroup_info 0
		.amdhsa_system_vgpr_workitem_id 0
		.amdhsa_next_free_vgpr 6
		.amdhsa_next_free_sgpr 16
		.amdhsa_reserve_vcc 1
		.amdhsa_float_round_mode_32 0
		.amdhsa_float_round_mode_16_64 0
		.amdhsa_float_denorm_mode_32 3
		.amdhsa_float_denorm_mode_16_64 3
		.amdhsa_dx10_clamp 1
		.amdhsa_ieee_mode 1
		.amdhsa_fp16_overflow 0
		.amdhsa_workgroup_processor_mode 1
		.amdhsa_memory_ordered 1
		.amdhsa_forward_progress 0
		.amdhsa_shared_vgpr_count 0
		.amdhsa_exception_fp_ieee_invalid_op 0
		.amdhsa_exception_fp_denorm_src 0
		.amdhsa_exception_fp_ieee_div_zero 0
		.amdhsa_exception_fp_ieee_overflow 0
		.amdhsa_exception_fp_ieee_underflow 0
		.amdhsa_exception_fp_ieee_inexact 0
		.amdhsa_exception_int_div_zero 0
	.end_amdhsa_kernel
	.section	.text._Z14shuffle_kernelIL17shuffle_test_type1EfEvPT0_jjm,"axG",@progbits,_Z14shuffle_kernelIL17shuffle_test_type1EfEvPT0_jjm,comdat
.Lfunc_end14:
	.size	_Z14shuffle_kernelIL17shuffle_test_type1EfEvPT0_jjm, .Lfunc_end14-_Z14shuffle_kernelIL17shuffle_test_type1EfEvPT0_jjm
                                        ; -- End function
	.section	.AMDGPU.csdata,"",@progbits
; Kernel info:
; codeLenInByte = 228
; NumSgprs: 18
; NumVgprs: 6
; ScratchSize: 0
; MemoryBound: 0
; FloatMode: 240
; IeeeMode: 1
; LDSByteSize: 0 bytes/workgroup (compile time only)
; SGPRBlocks: 2
; VGPRBlocks: 0
; NumSGPRsForWavesPerEU: 18
; NumVGPRsForWavesPerEU: 6
; Occupancy: 16
; WaveLimiterHint : 0
; COMPUTE_PGM_RSRC2:SCRATCH_EN: 0
; COMPUTE_PGM_RSRC2:USER_SGPR: 15
; COMPUTE_PGM_RSRC2:TRAP_HANDLER: 0
; COMPUTE_PGM_RSRC2:TGID_X_EN: 1
; COMPUTE_PGM_RSRC2:TGID_Y_EN: 0
; COMPUTE_PGM_RSRC2:TGID_Z_EN: 0
; COMPUTE_PGM_RSRC2:TIDIG_COMP_CNT: 0
	.section	.text._Z14shuffle_kernelIL17shuffle_test_type1EiEvPT0_jjm,"axG",@progbits,_Z14shuffle_kernelIL17shuffle_test_type1EiEvPT0_jjm,comdat
	.protected	_Z14shuffle_kernelIL17shuffle_test_type1EiEvPT0_jjm ; -- Begin function _Z14shuffle_kernelIL17shuffle_test_type1EiEvPT0_jjm
	.globl	_Z14shuffle_kernelIL17shuffle_test_type1EiEvPT0_jjm
	.p2align	8
	.type	_Z14shuffle_kernelIL17shuffle_test_type1EiEvPT0_jjm,@function
_Z14shuffle_kernelIL17shuffle_test_type1EiEvPT0_jjm: ; @_Z14shuffle_kernelIL17shuffle_test_type1EiEvPT0_jjm
; %bb.0:
	s_clause 0x2
	s_load_b32 s4, s[0:1], 0x24
	s_load_b32 s5, s[0:1], 0x10
	s_load_b64 s[2:3], s[0:1], 0x0
	v_mbcnt_lo_u32_b32 v2, -1, 0
	s_waitcnt lgkmcnt(0)
	s_and_b32 s4, s4, 0xffff
	s_delay_alu instid0(SALU_CYCLE_1) | instskip(NEXT) | instid1(VALU_DEP_2)
	v_mad_u64_u32 v[3:4], null, s15, s4, v[0:1]
	v_lshrrev_b32_e64 v0, v2, s5
	s_delay_alu instid0(VALU_DEP_1) | instskip(NEXT) | instid1(VALU_DEP_1)
	v_dual_mov_b32 v4, 0 :: v_dual_and_b32 v5, 1, v0
	v_lshlrev_b64 v[0:1], 2, v[3:4]
	v_mov_b32_e32 v3, 0xaa
	s_delay_alu instid0(VALU_DEP_2) | instskip(NEXT) | instid1(VALU_DEP_1)
	v_add_co_u32 v0, s2, s2, v0
	v_add_co_ci_u32_e64 v1, s2, s3, v1, s2
	s_mov_b32 s2, exec_lo
	v_cmpx_eq_u32_e32 1, v5
	s_cbranch_execz .LBB15_2
; %bb.1:
	global_load_b32 v3, v[0:1], off
	s_load_b64 s[0:1], s[0:1], 0x8
	s_waitcnt lgkmcnt(0)
	s_add_i32 s3, s1, -1
	s_delay_alu instid0(SALU_CYCLE_1) | instskip(NEXT) | instid1(VALU_DEP_1)
	v_and_b32_e32 v4, s3, v2
	v_add_nc_u32_e32 v4, s0, v4
	s_delay_alu instid0(VALU_DEP_1) | instskip(SKIP_1) | instid1(VALU_DEP_1)
	v_cmp_gt_i32_e32 vcc_lo, s1, v4
	v_cndmask_b32_e64 v4, 0, s0, vcc_lo
	v_add_lshl_u32 v2, v4, v2, 2
	s_waitcnt vmcnt(0)
	ds_bpermute_b32 v3, v2, v3
.LBB15_2:
	s_or_b32 exec_lo, exec_lo, s2
	s_waitcnt lgkmcnt(0)
	global_store_b32 v[0:1], v3, off
	s_nop 0
	s_sendmsg sendmsg(MSG_DEALLOC_VGPRS)
	s_endpgm
	.section	.rodata,"a",@progbits
	.p2align	6, 0x0
	.amdhsa_kernel _Z14shuffle_kernelIL17shuffle_test_type1EiEvPT0_jjm
		.amdhsa_group_segment_fixed_size 0
		.amdhsa_private_segment_fixed_size 0
		.amdhsa_kernarg_size 280
		.amdhsa_user_sgpr_count 15
		.amdhsa_user_sgpr_dispatch_ptr 0
		.amdhsa_user_sgpr_queue_ptr 0
		.amdhsa_user_sgpr_kernarg_segment_ptr 1
		.amdhsa_user_sgpr_dispatch_id 0
		.amdhsa_user_sgpr_private_segment_size 0
		.amdhsa_wavefront_size32 1
		.amdhsa_uses_dynamic_stack 0
		.amdhsa_enable_private_segment 0
		.amdhsa_system_sgpr_workgroup_id_x 1
		.amdhsa_system_sgpr_workgroup_id_y 0
		.amdhsa_system_sgpr_workgroup_id_z 0
		.amdhsa_system_sgpr_workgroup_info 0
		.amdhsa_system_vgpr_workitem_id 0
		.amdhsa_next_free_vgpr 6
		.amdhsa_next_free_sgpr 16
		.amdhsa_reserve_vcc 1
		.amdhsa_float_round_mode_32 0
		.amdhsa_float_round_mode_16_64 0
		.amdhsa_float_denorm_mode_32 3
		.amdhsa_float_denorm_mode_16_64 3
		.amdhsa_dx10_clamp 1
		.amdhsa_ieee_mode 1
		.amdhsa_fp16_overflow 0
		.amdhsa_workgroup_processor_mode 1
		.amdhsa_memory_ordered 1
		.amdhsa_forward_progress 0
		.amdhsa_shared_vgpr_count 0
		.amdhsa_exception_fp_ieee_invalid_op 0
		.amdhsa_exception_fp_denorm_src 0
		.amdhsa_exception_fp_ieee_div_zero 0
		.amdhsa_exception_fp_ieee_overflow 0
		.amdhsa_exception_fp_ieee_underflow 0
		.amdhsa_exception_fp_ieee_inexact 0
		.amdhsa_exception_int_div_zero 0
	.end_amdhsa_kernel
	.section	.text._Z14shuffle_kernelIL17shuffle_test_type1EiEvPT0_jjm,"axG",@progbits,_Z14shuffle_kernelIL17shuffle_test_type1EiEvPT0_jjm,comdat
.Lfunc_end15:
	.size	_Z14shuffle_kernelIL17shuffle_test_type1EiEvPT0_jjm, .Lfunc_end15-_Z14shuffle_kernelIL17shuffle_test_type1EiEvPT0_jjm
                                        ; -- End function
	.section	.AMDGPU.csdata,"",@progbits
; Kernel info:
; codeLenInByte = 228
; NumSgprs: 18
; NumVgprs: 6
; ScratchSize: 0
; MemoryBound: 0
; FloatMode: 240
; IeeeMode: 1
; LDSByteSize: 0 bytes/workgroup (compile time only)
; SGPRBlocks: 2
; VGPRBlocks: 0
; NumSGPRsForWavesPerEU: 18
; NumVGPRsForWavesPerEU: 6
; Occupancy: 16
; WaveLimiterHint : 0
; COMPUTE_PGM_RSRC2:SCRATCH_EN: 0
; COMPUTE_PGM_RSRC2:USER_SGPR: 15
; COMPUTE_PGM_RSRC2:TRAP_HANDLER: 0
; COMPUTE_PGM_RSRC2:TGID_X_EN: 1
; COMPUTE_PGM_RSRC2:TGID_Y_EN: 0
; COMPUTE_PGM_RSRC2:TGID_Z_EN: 0
; COMPUTE_PGM_RSRC2:TIDIG_COMP_CNT: 0
	.section	.text._Z14shuffle_kernelIL17shuffle_test_type2E16custom_16alignedEvPT0_jjm,"axG",@progbits,_Z14shuffle_kernelIL17shuffle_test_type2E16custom_16alignedEvPT0_jjm,comdat
	.protected	_Z14shuffle_kernelIL17shuffle_test_type2E16custom_16alignedEvPT0_jjm ; -- Begin function _Z14shuffle_kernelIL17shuffle_test_type2E16custom_16alignedEvPT0_jjm
	.globl	_Z14shuffle_kernelIL17shuffle_test_type2E16custom_16alignedEvPT0_jjm
	.p2align	8
	.type	_Z14shuffle_kernelIL17shuffle_test_type2E16custom_16alignedEvPT0_jjm,@function
_Z14shuffle_kernelIL17shuffle_test_type2E16custom_16alignedEvPT0_jjm: ; @_Z14shuffle_kernelIL17shuffle_test_type2E16custom_16alignedEvPT0_jjm
; %bb.0:
	s_clause 0x2
	s_load_b32 s4, s[0:1], 0x24
	s_load_b32 s5, s[0:1], 0x10
	s_load_b64 s[2:3], s[0:1], 0x0
	v_mbcnt_lo_u32_b32 v5, -1, 0
	s_waitcnt lgkmcnt(0)
	s_and_b32 s4, s4, 0xffff
	s_delay_alu instid0(SALU_CYCLE_1) | instskip(SKIP_2) | instid1(VALU_DEP_1)
	v_mad_u64_u32 v[1:2], null, s15, s4, v[0:1]
	v_mov_b32_e32 v2, 0
	v_lshrrev_b32_e64 v0, v5, s5
	v_and_b32_e32 v6, 1, v0
	s_delay_alu instid0(VALU_DEP_3) | instskip(SKIP_2) | instid1(VALU_DEP_3)
	v_lshlrev_b64 v[3:4], 4, v[1:2]
	v_dual_mov_b32 v1, 0xaa :: v_dual_mov_b32 v0, 0xaa
	v_mov_b32_e32 v2, 0x432a0000
	v_add_co_u32 v3, s2, s2, v3
	s_delay_alu instid0(VALU_DEP_1)
	v_add_co_ci_u32_e64 v4, s2, s3, v4, s2
	s_mov_b32 s2, exec_lo
	v_cmpx_eq_u32_e32 1, v6
	s_cbranch_execz .LBB16_2
; %bb.1:
	global_load_b128 v[6:9], v[3:4], off
	s_load_b64 s[0:1], s[0:1], 0x8
	s_waitcnt lgkmcnt(0)
	v_add_nc_u32_e32 v0, s1, v5
	s_sub_i32 s1, 0, s1
	v_xor_b32_e32 v1, s0, v5
	s_delay_alu instid0(VALU_DEP_2) | instskip(NEXT) | instid1(VALU_DEP_1)
	v_and_b32_e32 v0, s1, v0
	v_cmp_lt_i32_e32 vcc_lo, v1, v0
	v_cndmask_b32_e32 v0, v5, v1, vcc_lo
	s_delay_alu instid0(VALU_DEP_1)
	v_lshlrev_b32_e32 v2, 2, v0
	s_waitcnt vmcnt(0)
	ds_bpermute_b32 v0, v2, v6
	ds_bpermute_b32 v1, v2, v7
	;; [unrolled: 1-line block ×3, first 2 shown]
.LBB16_2:
	s_or_b32 exec_lo, exec_lo, s2
	s_waitcnt lgkmcnt(0)
	global_store_b96 v[3:4], v[0:2], off
	s_nop 0
	s_sendmsg sendmsg(MSG_DEALLOC_VGPRS)
	s_endpgm
	.section	.rodata,"a",@progbits
	.p2align	6, 0x0
	.amdhsa_kernel _Z14shuffle_kernelIL17shuffle_test_type2E16custom_16alignedEvPT0_jjm
		.amdhsa_group_segment_fixed_size 0
		.amdhsa_private_segment_fixed_size 0
		.amdhsa_kernarg_size 280
		.amdhsa_user_sgpr_count 15
		.amdhsa_user_sgpr_dispatch_ptr 0
		.amdhsa_user_sgpr_queue_ptr 0
		.amdhsa_user_sgpr_kernarg_segment_ptr 1
		.amdhsa_user_sgpr_dispatch_id 0
		.amdhsa_user_sgpr_private_segment_size 0
		.amdhsa_wavefront_size32 1
		.amdhsa_uses_dynamic_stack 0
		.amdhsa_enable_private_segment 0
		.amdhsa_system_sgpr_workgroup_id_x 1
		.amdhsa_system_sgpr_workgroup_id_y 0
		.amdhsa_system_sgpr_workgroup_id_z 0
		.amdhsa_system_sgpr_workgroup_info 0
		.amdhsa_system_vgpr_workitem_id 0
		.amdhsa_next_free_vgpr 10
		.amdhsa_next_free_sgpr 16
		.amdhsa_reserve_vcc 1
		.amdhsa_float_round_mode_32 0
		.amdhsa_float_round_mode_16_64 0
		.amdhsa_float_denorm_mode_32 3
		.amdhsa_float_denorm_mode_16_64 3
		.amdhsa_dx10_clamp 1
		.amdhsa_ieee_mode 1
		.amdhsa_fp16_overflow 0
		.amdhsa_workgroup_processor_mode 1
		.amdhsa_memory_ordered 1
		.amdhsa_forward_progress 0
		.amdhsa_shared_vgpr_count 0
		.amdhsa_exception_fp_ieee_invalid_op 0
		.amdhsa_exception_fp_denorm_src 0
		.amdhsa_exception_fp_ieee_div_zero 0
		.amdhsa_exception_fp_ieee_overflow 0
		.amdhsa_exception_fp_ieee_underflow 0
		.amdhsa_exception_fp_ieee_inexact 0
		.amdhsa_exception_int_div_zero 0
	.end_amdhsa_kernel
	.section	.text._Z14shuffle_kernelIL17shuffle_test_type2E16custom_16alignedEvPT0_jjm,"axG",@progbits,_Z14shuffle_kernelIL17shuffle_test_type2E16custom_16alignedEvPT0_jjm,comdat
.Lfunc_end16:
	.size	_Z14shuffle_kernelIL17shuffle_test_type2E16custom_16alignedEvPT0_jjm, .Lfunc_end16-_Z14shuffle_kernelIL17shuffle_test_type2E16custom_16alignedEvPT0_jjm
                                        ; -- End function
	.section	.AMDGPU.csdata,"",@progbits
; Kernel info:
; codeLenInByte = 252
; NumSgprs: 18
; NumVgprs: 10
; ScratchSize: 0
; MemoryBound: 0
; FloatMode: 240
; IeeeMode: 1
; LDSByteSize: 0 bytes/workgroup (compile time only)
; SGPRBlocks: 2
; VGPRBlocks: 1
; NumSGPRsForWavesPerEU: 18
; NumVGPRsForWavesPerEU: 10
; Occupancy: 16
; WaveLimiterHint : 0
; COMPUTE_PGM_RSRC2:SCRATCH_EN: 0
; COMPUTE_PGM_RSRC2:USER_SGPR: 15
; COMPUTE_PGM_RSRC2:TRAP_HANDLER: 0
; COMPUTE_PGM_RSRC2:TGID_X_EN: 1
; COMPUTE_PGM_RSRC2:TGID_Y_EN: 0
; COMPUTE_PGM_RSRC2:TGID_Z_EN: 0
; COMPUTE_PGM_RSRC2:TIDIG_COMP_CNT: 0
	.section	.text._Z14shuffle_kernelIL17shuffle_test_type2E17custom_notalignedEvPT0_jjm,"axG",@progbits,_Z14shuffle_kernelIL17shuffle_test_type2E17custom_notalignedEvPT0_jjm,comdat
	.protected	_Z14shuffle_kernelIL17shuffle_test_type2E17custom_notalignedEvPT0_jjm ; -- Begin function _Z14shuffle_kernelIL17shuffle_test_type2E17custom_notalignedEvPT0_jjm
	.globl	_Z14shuffle_kernelIL17shuffle_test_type2E17custom_notalignedEvPT0_jjm
	.p2align	8
	.type	_Z14shuffle_kernelIL17shuffle_test_type2E17custom_notalignedEvPT0_jjm,@function
_Z14shuffle_kernelIL17shuffle_test_type2E17custom_notalignedEvPT0_jjm: ; @_Z14shuffle_kernelIL17shuffle_test_type2E17custom_notalignedEvPT0_jjm
; %bb.0:
	s_clause 0x2
	s_load_b32 s4, s[0:1], 0x24
	s_load_b32 s5, s[0:1], 0x10
	s_load_b64 s[2:3], s[0:1], 0x0
	v_mbcnt_lo_u32_b32 v6, -1, 0
	v_mov_b32_e32 v7, 0xaa
	s_waitcnt lgkmcnt(0)
	s_and_b32 s4, s4, 0xffff
	s_delay_alu instid0(VALU_DEP_2) | instskip(SKIP_2) | instid1(VALU_DEP_3)
	v_lshrrev_b32_e64 v3, v6, s5
	v_mad_u64_u32 v[1:2], null, s15, s4, v[0:1]
	v_mov_b32_e32 v2, 0x432a0000
	v_dual_mov_b32 v3, 0xaa :: v_dual_and_b32 v0, 1, v3
	s_delay_alu instid0(VALU_DEP_3) | instskip(NEXT) | instid1(VALU_DEP_2)
	v_mad_u64_u32 v[4:5], null, v1, 24, s[2:3]
	v_cmp_eq_u32_e32 vcc_lo, 1, v0
	v_mov_b32_e32 v0, 0
	v_mov_b32_e32 v1, 0x40654000
	s_and_saveexec_b32 s2, vcc_lo
	s_cbranch_execz .LBB17_2
; %bb.1:
	s_clause 0x1
	global_load_b32 v7, v[4:5], off
	global_load_b128 v[0:3], v[4:5], off offset:8
	s_load_b64 s[0:1], s[0:1], 0x8
	s_waitcnt lgkmcnt(0)
	v_add_nc_u32_e32 v8, s1, v6
	s_sub_i32 s1, 0, s1
	v_xor_b32_e32 v9, s0, v6
	s_delay_alu instid0(VALU_DEP_2) | instskip(NEXT) | instid1(VALU_DEP_1)
	v_and_b32_e32 v8, s1, v8
	v_cmp_lt_i32_e32 vcc_lo, v9, v8
	v_cndmask_b32_e32 v6, v6, v9, vcc_lo
	s_delay_alu instid0(VALU_DEP_1)
	v_lshlrev_b32_e32 v6, 2, v6
	s_waitcnt vmcnt(1)
	ds_bpermute_b32 v7, v6, v7
	s_waitcnt vmcnt(0)
	ds_bpermute_b32 v0, v6, v0
	ds_bpermute_b32 v1, v6, v1
	;; [unrolled: 1-line block ×4, first 2 shown]
.LBB17_2:
	s_or_b32 exec_lo, exec_lo, s2
	s_waitcnt lgkmcnt(4)
	global_store_b16 v[4:5], v7, off
	s_waitcnt lgkmcnt(0)
	global_store_b128 v[4:5], v[0:3], off offset:8
	s_nop 0
	s_sendmsg sendmsg(MSG_DEALLOC_VGPRS)
	s_endpgm
	.section	.rodata,"a",@progbits
	.p2align	6, 0x0
	.amdhsa_kernel _Z14shuffle_kernelIL17shuffle_test_type2E17custom_notalignedEvPT0_jjm
		.amdhsa_group_segment_fixed_size 0
		.amdhsa_private_segment_fixed_size 0
		.amdhsa_kernarg_size 280
		.amdhsa_user_sgpr_count 15
		.amdhsa_user_sgpr_dispatch_ptr 0
		.amdhsa_user_sgpr_queue_ptr 0
		.amdhsa_user_sgpr_kernarg_segment_ptr 1
		.amdhsa_user_sgpr_dispatch_id 0
		.amdhsa_user_sgpr_private_segment_size 0
		.amdhsa_wavefront_size32 1
		.amdhsa_uses_dynamic_stack 0
		.amdhsa_enable_private_segment 0
		.amdhsa_system_sgpr_workgroup_id_x 1
		.amdhsa_system_sgpr_workgroup_id_y 0
		.amdhsa_system_sgpr_workgroup_id_z 0
		.amdhsa_system_sgpr_workgroup_info 0
		.amdhsa_system_vgpr_workitem_id 0
		.amdhsa_next_free_vgpr 10
		.amdhsa_next_free_sgpr 16
		.amdhsa_reserve_vcc 1
		.amdhsa_float_round_mode_32 0
		.amdhsa_float_round_mode_16_64 0
		.amdhsa_float_denorm_mode_32 3
		.amdhsa_float_denorm_mode_16_64 3
		.amdhsa_dx10_clamp 1
		.amdhsa_ieee_mode 1
		.amdhsa_fp16_overflow 0
		.amdhsa_workgroup_processor_mode 1
		.amdhsa_memory_ordered 1
		.amdhsa_forward_progress 0
		.amdhsa_shared_vgpr_count 0
		.amdhsa_exception_fp_ieee_invalid_op 0
		.amdhsa_exception_fp_denorm_src 0
		.amdhsa_exception_fp_ieee_div_zero 0
		.amdhsa_exception_fp_ieee_overflow 0
		.amdhsa_exception_fp_ieee_underflow 0
		.amdhsa_exception_fp_ieee_inexact 0
		.amdhsa_exception_int_div_zero 0
	.end_amdhsa_kernel
	.section	.text._Z14shuffle_kernelIL17shuffle_test_type2E17custom_notalignedEvPT0_jjm,"axG",@progbits,_Z14shuffle_kernelIL17shuffle_test_type2E17custom_notalignedEvPT0_jjm,comdat
.Lfunc_end17:
	.size	_Z14shuffle_kernelIL17shuffle_test_type2E17custom_notalignedEvPT0_jjm, .Lfunc_end17-_Z14shuffle_kernelIL17shuffle_test_type2E17custom_notalignedEvPT0_jjm
                                        ; -- End function
	.section	.AMDGPU.csdata,"",@progbits
; Kernel info:
; codeLenInByte = 288
; NumSgprs: 18
; NumVgprs: 10
; ScratchSize: 0
; MemoryBound: 0
; FloatMode: 240
; IeeeMode: 1
; LDSByteSize: 0 bytes/workgroup (compile time only)
; SGPRBlocks: 2
; VGPRBlocks: 1
; NumSGPRsForWavesPerEU: 18
; NumVGPRsForWavesPerEU: 10
; Occupancy: 16
; WaveLimiterHint : 0
; COMPUTE_PGM_RSRC2:SCRATCH_EN: 0
; COMPUTE_PGM_RSRC2:USER_SGPR: 15
; COMPUTE_PGM_RSRC2:TRAP_HANDLER: 0
; COMPUTE_PGM_RSRC2:TGID_X_EN: 1
; COMPUTE_PGM_RSRC2:TGID_Y_EN: 0
; COMPUTE_PGM_RSRC2:TGID_Z_EN: 0
; COMPUTE_PGM_RSRC2:TIDIG_COMP_CNT: 0
	.section	.text._Z14shuffle_kernelIL17shuffle_test_type2EhEvPT0_jjm,"axG",@progbits,_Z14shuffle_kernelIL17shuffle_test_type2EhEvPT0_jjm,comdat
	.protected	_Z14shuffle_kernelIL17shuffle_test_type2EhEvPT0_jjm ; -- Begin function _Z14shuffle_kernelIL17shuffle_test_type2EhEvPT0_jjm
	.globl	_Z14shuffle_kernelIL17shuffle_test_type2EhEvPT0_jjm
	.p2align	8
	.type	_Z14shuffle_kernelIL17shuffle_test_type2EhEvPT0_jjm,@function
_Z14shuffle_kernelIL17shuffle_test_type2EhEvPT0_jjm: ; @_Z14shuffle_kernelIL17shuffle_test_type2EhEvPT0_jjm
; %bb.0:
	s_clause 0x2
	s_load_b32 s4, s[0:1], 0x24
	s_load_b32 s5, s[0:1], 0x10
	s_load_b64 s[2:3], s[0:1], 0x0
	v_mbcnt_lo_u32_b32 v2, -1, 0
	s_waitcnt lgkmcnt(0)
	s_and_b32 s4, s4, 0xffff
	s_delay_alu instid0(SALU_CYCLE_1) | instskip(NEXT) | instid1(VALU_DEP_2)
	v_mad_u64_u32 v[3:4], null, s15, s4, v[0:1]
	v_lshrrev_b32_e64 v0, v2, s5
	s_delay_alu instid0(VALU_DEP_1) | instskip(NEXT) | instid1(VALU_DEP_3)
	v_and_b32_e32 v4, 1, v0
	v_add_co_u32 v0, s2, s2, v3
	v_mov_b32_e32 v3, 0xaa
	v_add_co_ci_u32_e64 v1, null, s3, 0, s2
	s_mov_b32 s2, exec_lo
	v_cmpx_eq_u32_e32 1, v4
	s_cbranch_execz .LBB18_2
; %bb.1:
	global_load_u8 v3, v[0:1], off
	s_load_b64 s[0:1], s[0:1], 0x8
	s_waitcnt lgkmcnt(0)
	v_add_nc_u32_e32 v4, s1, v2
	s_sub_i32 s1, 0, s1
	v_xor_b32_e32 v5, s0, v2
	s_delay_alu instid0(VALU_DEP_2) | instskip(NEXT) | instid1(VALU_DEP_1)
	v_and_b32_e32 v4, s1, v4
	v_cmp_lt_i32_e32 vcc_lo, v5, v4
	v_cndmask_b32_e32 v2, v2, v5, vcc_lo
	s_delay_alu instid0(VALU_DEP_1)
	v_lshlrev_b32_e32 v2, 2, v2
	s_waitcnt vmcnt(0)
	ds_bpermute_b32 v3, v2, v3
.LBB18_2:
	s_or_b32 exec_lo, exec_lo, s2
	s_waitcnt lgkmcnt(0)
	global_store_b8 v[0:1], v3, off
	s_nop 0
	s_sendmsg sendmsg(MSG_DEALLOC_VGPRS)
	s_endpgm
	.section	.rodata,"a",@progbits
	.p2align	6, 0x0
	.amdhsa_kernel _Z14shuffle_kernelIL17shuffle_test_type2EhEvPT0_jjm
		.amdhsa_group_segment_fixed_size 0
		.amdhsa_private_segment_fixed_size 0
		.amdhsa_kernarg_size 280
		.amdhsa_user_sgpr_count 15
		.amdhsa_user_sgpr_dispatch_ptr 0
		.amdhsa_user_sgpr_queue_ptr 0
		.amdhsa_user_sgpr_kernarg_segment_ptr 1
		.amdhsa_user_sgpr_dispatch_id 0
		.amdhsa_user_sgpr_private_segment_size 0
		.amdhsa_wavefront_size32 1
		.amdhsa_uses_dynamic_stack 0
		.amdhsa_enable_private_segment 0
		.amdhsa_system_sgpr_workgroup_id_x 1
		.amdhsa_system_sgpr_workgroup_id_y 0
		.amdhsa_system_sgpr_workgroup_id_z 0
		.amdhsa_system_sgpr_workgroup_info 0
		.amdhsa_system_vgpr_workitem_id 0
		.amdhsa_next_free_vgpr 6
		.amdhsa_next_free_sgpr 16
		.amdhsa_reserve_vcc 1
		.amdhsa_float_round_mode_32 0
		.amdhsa_float_round_mode_16_64 0
		.amdhsa_float_denorm_mode_32 3
		.amdhsa_float_denorm_mode_16_64 3
		.amdhsa_dx10_clamp 1
		.amdhsa_ieee_mode 1
		.amdhsa_fp16_overflow 0
		.amdhsa_workgroup_processor_mode 1
		.amdhsa_memory_ordered 1
		.amdhsa_forward_progress 0
		.amdhsa_shared_vgpr_count 0
		.amdhsa_exception_fp_ieee_invalid_op 0
		.amdhsa_exception_fp_denorm_src 0
		.amdhsa_exception_fp_ieee_div_zero 0
		.amdhsa_exception_fp_ieee_overflow 0
		.amdhsa_exception_fp_ieee_underflow 0
		.amdhsa_exception_fp_ieee_inexact 0
		.amdhsa_exception_int_div_zero 0
	.end_amdhsa_kernel
	.section	.text._Z14shuffle_kernelIL17shuffle_test_type2EhEvPT0_jjm,"axG",@progbits,_Z14shuffle_kernelIL17shuffle_test_type2EhEvPT0_jjm,comdat
.Lfunc_end18:
	.size	_Z14shuffle_kernelIL17shuffle_test_type2EhEvPT0_jjm, .Lfunc_end18-_Z14shuffle_kernelIL17shuffle_test_type2EhEvPT0_jjm
                                        ; -- End function
	.section	.AMDGPU.csdata,"",@progbits
; Kernel info:
; codeLenInByte = 208
; NumSgprs: 18
; NumVgprs: 6
; ScratchSize: 0
; MemoryBound: 0
; FloatMode: 240
; IeeeMode: 1
; LDSByteSize: 0 bytes/workgroup (compile time only)
; SGPRBlocks: 2
; VGPRBlocks: 0
; NumSGPRsForWavesPerEU: 18
; NumVGPRsForWavesPerEU: 6
; Occupancy: 16
; WaveLimiterHint : 0
; COMPUTE_PGM_RSRC2:SCRATCH_EN: 0
; COMPUTE_PGM_RSRC2:USER_SGPR: 15
; COMPUTE_PGM_RSRC2:TRAP_HANDLER: 0
; COMPUTE_PGM_RSRC2:TGID_X_EN: 1
; COMPUTE_PGM_RSRC2:TGID_Y_EN: 0
; COMPUTE_PGM_RSRC2:TGID_Z_EN: 0
; COMPUTE_PGM_RSRC2:TIDIG_COMP_CNT: 0
	.section	.text._Z14shuffle_kernelIL17shuffle_test_type2EdEvPT0_jjm,"axG",@progbits,_Z14shuffle_kernelIL17shuffle_test_type2EdEvPT0_jjm,comdat
	.protected	_Z14shuffle_kernelIL17shuffle_test_type2EdEvPT0_jjm ; -- Begin function _Z14shuffle_kernelIL17shuffle_test_type2EdEvPT0_jjm
	.globl	_Z14shuffle_kernelIL17shuffle_test_type2EdEvPT0_jjm
	.p2align	8
	.type	_Z14shuffle_kernelIL17shuffle_test_type2EdEvPT0_jjm,@function
_Z14shuffle_kernelIL17shuffle_test_type2EdEvPT0_jjm: ; @_Z14shuffle_kernelIL17shuffle_test_type2EdEvPT0_jjm
; %bb.0:
	s_clause 0x2
	s_load_b32 s4, s[0:1], 0x24
	s_load_b32 s5, s[0:1], 0x10
	s_load_b64 s[2:3], s[0:1], 0x0
	v_mbcnt_lo_u32_b32 v4, -1, 0
	s_waitcnt lgkmcnt(0)
	s_and_b32 s4, s4, 0xffff
	s_delay_alu instid0(SALU_CYCLE_1) | instskip(NEXT) | instid1(VALU_DEP_2)
	v_mad_u64_u32 v[1:2], null, s15, s4, v[0:1]
	v_lshrrev_b32_e64 v0, v4, s5
	v_mov_b32_e32 v2, 0
	s_mov_b32 s4, 0
	s_mov_b32 s5, 0x40654000
	s_delay_alu instid0(VALU_DEP_2) | instskip(NEXT) | instid1(VALU_DEP_2)
	v_and_b32_e32 v3, 1, v0
	v_lshlrev_b64 v[0:1], 3, v[1:2]
	s_delay_alu instid0(VALU_DEP_2) | instskip(SKIP_1) | instid1(VALU_DEP_3)
	v_cmp_eq_u32_e32 vcc_lo, 1, v3
	v_dual_mov_b32 v2, s4 :: v_dual_mov_b32 v3, s5
	v_add_co_u32 v0, s2, s2, v0
	s_delay_alu instid0(VALU_DEP_1)
	v_add_co_ci_u32_e64 v1, s2, s3, v1, s2
	s_and_saveexec_b32 s2, vcc_lo
	s_cbranch_execz .LBB19_2
; %bb.1:
	global_load_b64 v[2:3], v[0:1], off
	s_load_b64 s[0:1], s[0:1], 0x8
	s_waitcnt lgkmcnt(0)
	v_xor_b32_e32 v6, s0, v4
	v_add_nc_u32_e32 v5, s1, v4
	s_sub_i32 s1, 0, s1
	s_delay_alu instid0(VALU_DEP_1) | instid1(SALU_CYCLE_1)
	v_and_b32_e32 v5, s1, v5
	s_delay_alu instid0(VALU_DEP_1) | instskip(SKIP_1) | instid1(VALU_DEP_1)
	v_cmp_lt_i32_e32 vcc_lo, v6, v5
	v_cndmask_b32_e32 v4, v4, v6, vcc_lo
	v_lshlrev_b32_e32 v4, 2, v4
	s_waitcnt vmcnt(0)
	ds_bpermute_b32 v2, v4, v2
	ds_bpermute_b32 v3, v4, v3
.LBB19_2:
	s_or_b32 exec_lo, exec_lo, s2
	s_waitcnt lgkmcnt(0)
	global_store_b64 v[0:1], v[2:3], off
	s_nop 0
	s_sendmsg sendmsg(MSG_DEALLOC_VGPRS)
	s_endpgm
	.section	.rodata,"a",@progbits
	.p2align	6, 0x0
	.amdhsa_kernel _Z14shuffle_kernelIL17shuffle_test_type2EdEvPT0_jjm
		.amdhsa_group_segment_fixed_size 0
		.amdhsa_private_segment_fixed_size 0
		.amdhsa_kernarg_size 280
		.amdhsa_user_sgpr_count 15
		.amdhsa_user_sgpr_dispatch_ptr 0
		.amdhsa_user_sgpr_queue_ptr 0
		.amdhsa_user_sgpr_kernarg_segment_ptr 1
		.amdhsa_user_sgpr_dispatch_id 0
		.amdhsa_user_sgpr_private_segment_size 0
		.amdhsa_wavefront_size32 1
		.amdhsa_uses_dynamic_stack 0
		.amdhsa_enable_private_segment 0
		.amdhsa_system_sgpr_workgroup_id_x 1
		.amdhsa_system_sgpr_workgroup_id_y 0
		.amdhsa_system_sgpr_workgroup_id_z 0
		.amdhsa_system_sgpr_workgroup_info 0
		.amdhsa_system_vgpr_workitem_id 0
		.amdhsa_next_free_vgpr 7
		.amdhsa_next_free_sgpr 16
		.amdhsa_reserve_vcc 1
		.amdhsa_float_round_mode_32 0
		.amdhsa_float_round_mode_16_64 0
		.amdhsa_float_denorm_mode_32 3
		.amdhsa_float_denorm_mode_16_64 3
		.amdhsa_dx10_clamp 1
		.amdhsa_ieee_mode 1
		.amdhsa_fp16_overflow 0
		.amdhsa_workgroup_processor_mode 1
		.amdhsa_memory_ordered 1
		.amdhsa_forward_progress 0
		.amdhsa_shared_vgpr_count 0
		.amdhsa_exception_fp_ieee_invalid_op 0
		.amdhsa_exception_fp_denorm_src 0
		.amdhsa_exception_fp_ieee_div_zero 0
		.amdhsa_exception_fp_ieee_overflow 0
		.amdhsa_exception_fp_ieee_underflow 0
		.amdhsa_exception_fp_ieee_inexact 0
		.amdhsa_exception_int_div_zero 0
	.end_amdhsa_kernel
	.section	.text._Z14shuffle_kernelIL17shuffle_test_type2EdEvPT0_jjm,"axG",@progbits,_Z14shuffle_kernelIL17shuffle_test_type2EdEvPT0_jjm,comdat
.Lfunc_end19:
	.size	_Z14shuffle_kernelIL17shuffle_test_type2EdEvPT0_jjm, .Lfunc_end19-_Z14shuffle_kernelIL17shuffle_test_type2EdEvPT0_jjm
                                        ; -- End function
	.section	.AMDGPU.csdata,"",@progbits
; Kernel info:
; codeLenInByte = 248
; NumSgprs: 18
; NumVgprs: 7
; ScratchSize: 0
; MemoryBound: 0
; FloatMode: 240
; IeeeMode: 1
; LDSByteSize: 0 bytes/workgroup (compile time only)
; SGPRBlocks: 2
; VGPRBlocks: 0
; NumSGPRsForWavesPerEU: 18
; NumVGPRsForWavesPerEU: 7
; Occupancy: 16
; WaveLimiterHint : 0
; COMPUTE_PGM_RSRC2:SCRATCH_EN: 0
; COMPUTE_PGM_RSRC2:USER_SGPR: 15
; COMPUTE_PGM_RSRC2:TRAP_HANDLER: 0
; COMPUTE_PGM_RSRC2:TGID_X_EN: 1
; COMPUTE_PGM_RSRC2:TGID_Y_EN: 0
; COMPUTE_PGM_RSRC2:TGID_Z_EN: 0
; COMPUTE_PGM_RSRC2:TIDIG_COMP_CNT: 0
	.section	.text._Z14shuffle_kernelIL17shuffle_test_type2EfEvPT0_jjm,"axG",@progbits,_Z14shuffle_kernelIL17shuffle_test_type2EfEvPT0_jjm,comdat
	.protected	_Z14shuffle_kernelIL17shuffle_test_type2EfEvPT0_jjm ; -- Begin function _Z14shuffle_kernelIL17shuffle_test_type2EfEvPT0_jjm
	.globl	_Z14shuffle_kernelIL17shuffle_test_type2EfEvPT0_jjm
	.p2align	8
	.type	_Z14shuffle_kernelIL17shuffle_test_type2EfEvPT0_jjm,@function
_Z14shuffle_kernelIL17shuffle_test_type2EfEvPT0_jjm: ; @_Z14shuffle_kernelIL17shuffle_test_type2EfEvPT0_jjm
; %bb.0:
	s_clause 0x2
	s_load_b32 s4, s[0:1], 0x24
	s_load_b32 s5, s[0:1], 0x10
	s_load_b64 s[2:3], s[0:1], 0x0
	v_mbcnt_lo_u32_b32 v2, -1, 0
	s_waitcnt lgkmcnt(0)
	s_and_b32 s4, s4, 0xffff
	s_delay_alu instid0(SALU_CYCLE_1) | instskip(NEXT) | instid1(VALU_DEP_2)
	v_mad_u64_u32 v[3:4], null, s15, s4, v[0:1]
	v_lshrrev_b32_e64 v0, v2, s5
	s_delay_alu instid0(VALU_DEP_1) | instskip(NEXT) | instid1(VALU_DEP_1)
	v_dual_mov_b32 v4, 0 :: v_dual_and_b32 v5, 1, v0
	v_lshlrev_b64 v[0:1], 2, v[3:4]
	v_mov_b32_e32 v3, 0x432a0000
	s_delay_alu instid0(VALU_DEP_2) | instskip(NEXT) | instid1(VALU_DEP_1)
	v_add_co_u32 v0, s2, s2, v0
	v_add_co_ci_u32_e64 v1, s2, s3, v1, s2
	s_mov_b32 s2, exec_lo
	v_cmpx_eq_u32_e32 1, v5
	s_cbranch_execz .LBB20_2
; %bb.1:
	global_load_b32 v3, v[0:1], off
	s_load_b64 s[0:1], s[0:1], 0x8
	s_waitcnt lgkmcnt(0)
	v_add_nc_u32_e32 v4, s1, v2
	s_sub_i32 s1, 0, s1
	v_xor_b32_e32 v5, s0, v2
	s_delay_alu instid0(VALU_DEP_2) | instskip(NEXT) | instid1(VALU_DEP_1)
	v_and_b32_e32 v4, s1, v4
	v_cmp_lt_i32_e32 vcc_lo, v5, v4
	v_cndmask_b32_e32 v2, v2, v5, vcc_lo
	s_delay_alu instid0(VALU_DEP_1)
	v_lshlrev_b32_e32 v2, 2, v2
	s_waitcnt vmcnt(0)
	ds_bpermute_b32 v3, v2, v3
.LBB20_2:
	s_or_b32 exec_lo, exec_lo, s2
	s_waitcnt lgkmcnt(0)
	global_store_b32 v[0:1], v3, off
	s_nop 0
	s_sendmsg sendmsg(MSG_DEALLOC_VGPRS)
	s_endpgm
	.section	.rodata,"a",@progbits
	.p2align	6, 0x0
	.amdhsa_kernel _Z14shuffle_kernelIL17shuffle_test_type2EfEvPT0_jjm
		.amdhsa_group_segment_fixed_size 0
		.amdhsa_private_segment_fixed_size 0
		.amdhsa_kernarg_size 280
		.amdhsa_user_sgpr_count 15
		.amdhsa_user_sgpr_dispatch_ptr 0
		.amdhsa_user_sgpr_queue_ptr 0
		.amdhsa_user_sgpr_kernarg_segment_ptr 1
		.amdhsa_user_sgpr_dispatch_id 0
		.amdhsa_user_sgpr_private_segment_size 0
		.amdhsa_wavefront_size32 1
		.amdhsa_uses_dynamic_stack 0
		.amdhsa_enable_private_segment 0
		.amdhsa_system_sgpr_workgroup_id_x 1
		.amdhsa_system_sgpr_workgroup_id_y 0
		.amdhsa_system_sgpr_workgroup_id_z 0
		.amdhsa_system_sgpr_workgroup_info 0
		.amdhsa_system_vgpr_workitem_id 0
		.amdhsa_next_free_vgpr 6
		.amdhsa_next_free_sgpr 16
		.amdhsa_reserve_vcc 1
		.amdhsa_float_round_mode_32 0
		.amdhsa_float_round_mode_16_64 0
		.amdhsa_float_denorm_mode_32 3
		.amdhsa_float_denorm_mode_16_64 3
		.amdhsa_dx10_clamp 1
		.amdhsa_ieee_mode 1
		.amdhsa_fp16_overflow 0
		.amdhsa_workgroup_processor_mode 1
		.amdhsa_memory_ordered 1
		.amdhsa_forward_progress 0
		.amdhsa_shared_vgpr_count 0
		.amdhsa_exception_fp_ieee_invalid_op 0
		.amdhsa_exception_fp_denorm_src 0
		.amdhsa_exception_fp_ieee_div_zero 0
		.amdhsa_exception_fp_ieee_overflow 0
		.amdhsa_exception_fp_ieee_underflow 0
		.amdhsa_exception_fp_ieee_inexact 0
		.amdhsa_exception_int_div_zero 0
	.end_amdhsa_kernel
	.section	.text._Z14shuffle_kernelIL17shuffle_test_type2EfEvPT0_jjm,"axG",@progbits,_Z14shuffle_kernelIL17shuffle_test_type2EfEvPT0_jjm,comdat
.Lfunc_end20:
	.size	_Z14shuffle_kernelIL17shuffle_test_type2EfEvPT0_jjm, .Lfunc_end20-_Z14shuffle_kernelIL17shuffle_test_type2EfEvPT0_jjm
                                        ; -- End function
	.section	.AMDGPU.csdata,"",@progbits
; Kernel info:
; codeLenInByte = 224
; NumSgprs: 18
; NumVgprs: 6
; ScratchSize: 0
; MemoryBound: 0
; FloatMode: 240
; IeeeMode: 1
; LDSByteSize: 0 bytes/workgroup (compile time only)
; SGPRBlocks: 2
; VGPRBlocks: 0
; NumSGPRsForWavesPerEU: 18
; NumVGPRsForWavesPerEU: 6
; Occupancy: 16
; WaveLimiterHint : 0
; COMPUTE_PGM_RSRC2:SCRATCH_EN: 0
; COMPUTE_PGM_RSRC2:USER_SGPR: 15
; COMPUTE_PGM_RSRC2:TRAP_HANDLER: 0
; COMPUTE_PGM_RSRC2:TGID_X_EN: 1
; COMPUTE_PGM_RSRC2:TGID_Y_EN: 0
; COMPUTE_PGM_RSRC2:TGID_Z_EN: 0
; COMPUTE_PGM_RSRC2:TIDIG_COMP_CNT: 0
	.section	.text._Z14shuffle_kernelIL17shuffle_test_type2EiEvPT0_jjm,"axG",@progbits,_Z14shuffle_kernelIL17shuffle_test_type2EiEvPT0_jjm,comdat
	.protected	_Z14shuffle_kernelIL17shuffle_test_type2EiEvPT0_jjm ; -- Begin function _Z14shuffle_kernelIL17shuffle_test_type2EiEvPT0_jjm
	.globl	_Z14shuffle_kernelIL17shuffle_test_type2EiEvPT0_jjm
	.p2align	8
	.type	_Z14shuffle_kernelIL17shuffle_test_type2EiEvPT0_jjm,@function
_Z14shuffle_kernelIL17shuffle_test_type2EiEvPT0_jjm: ; @_Z14shuffle_kernelIL17shuffle_test_type2EiEvPT0_jjm
; %bb.0:
	s_clause 0x2
	s_load_b32 s4, s[0:1], 0x24
	s_load_b32 s5, s[0:1], 0x10
	s_load_b64 s[2:3], s[0:1], 0x0
	v_mbcnt_lo_u32_b32 v2, -1, 0
	s_waitcnt lgkmcnt(0)
	s_and_b32 s4, s4, 0xffff
	s_delay_alu instid0(SALU_CYCLE_1) | instskip(NEXT) | instid1(VALU_DEP_2)
	v_mad_u64_u32 v[3:4], null, s15, s4, v[0:1]
	v_lshrrev_b32_e64 v0, v2, s5
	s_delay_alu instid0(VALU_DEP_1) | instskip(NEXT) | instid1(VALU_DEP_1)
	v_dual_mov_b32 v4, 0 :: v_dual_and_b32 v5, 1, v0
	v_lshlrev_b64 v[0:1], 2, v[3:4]
	v_mov_b32_e32 v3, 0xaa
	s_delay_alu instid0(VALU_DEP_2) | instskip(NEXT) | instid1(VALU_DEP_1)
	v_add_co_u32 v0, s2, s2, v0
	v_add_co_ci_u32_e64 v1, s2, s3, v1, s2
	s_mov_b32 s2, exec_lo
	v_cmpx_eq_u32_e32 1, v5
	s_cbranch_execz .LBB21_2
; %bb.1:
	global_load_b32 v3, v[0:1], off
	s_load_b64 s[0:1], s[0:1], 0x8
	s_waitcnt lgkmcnt(0)
	v_add_nc_u32_e32 v4, s1, v2
	s_sub_i32 s1, 0, s1
	v_xor_b32_e32 v5, s0, v2
	s_delay_alu instid0(VALU_DEP_2) | instskip(NEXT) | instid1(VALU_DEP_1)
	v_and_b32_e32 v4, s1, v4
	v_cmp_lt_i32_e32 vcc_lo, v5, v4
	v_cndmask_b32_e32 v2, v2, v5, vcc_lo
	s_delay_alu instid0(VALU_DEP_1)
	v_lshlrev_b32_e32 v2, 2, v2
	s_waitcnt vmcnt(0)
	ds_bpermute_b32 v3, v2, v3
.LBB21_2:
	s_or_b32 exec_lo, exec_lo, s2
	s_waitcnt lgkmcnt(0)
	global_store_b32 v[0:1], v3, off
	s_nop 0
	s_sendmsg sendmsg(MSG_DEALLOC_VGPRS)
	s_endpgm
	.section	.rodata,"a",@progbits
	.p2align	6, 0x0
	.amdhsa_kernel _Z14shuffle_kernelIL17shuffle_test_type2EiEvPT0_jjm
		.amdhsa_group_segment_fixed_size 0
		.amdhsa_private_segment_fixed_size 0
		.amdhsa_kernarg_size 280
		.amdhsa_user_sgpr_count 15
		.amdhsa_user_sgpr_dispatch_ptr 0
		.amdhsa_user_sgpr_queue_ptr 0
		.amdhsa_user_sgpr_kernarg_segment_ptr 1
		.amdhsa_user_sgpr_dispatch_id 0
		.amdhsa_user_sgpr_private_segment_size 0
		.amdhsa_wavefront_size32 1
		.amdhsa_uses_dynamic_stack 0
		.amdhsa_enable_private_segment 0
		.amdhsa_system_sgpr_workgroup_id_x 1
		.amdhsa_system_sgpr_workgroup_id_y 0
		.amdhsa_system_sgpr_workgroup_id_z 0
		.amdhsa_system_sgpr_workgroup_info 0
		.amdhsa_system_vgpr_workitem_id 0
		.amdhsa_next_free_vgpr 6
		.amdhsa_next_free_sgpr 16
		.amdhsa_reserve_vcc 1
		.amdhsa_float_round_mode_32 0
		.amdhsa_float_round_mode_16_64 0
		.amdhsa_float_denorm_mode_32 3
		.amdhsa_float_denorm_mode_16_64 3
		.amdhsa_dx10_clamp 1
		.amdhsa_ieee_mode 1
		.amdhsa_fp16_overflow 0
		.amdhsa_workgroup_processor_mode 1
		.amdhsa_memory_ordered 1
		.amdhsa_forward_progress 0
		.amdhsa_shared_vgpr_count 0
		.amdhsa_exception_fp_ieee_invalid_op 0
		.amdhsa_exception_fp_denorm_src 0
		.amdhsa_exception_fp_ieee_div_zero 0
		.amdhsa_exception_fp_ieee_overflow 0
		.amdhsa_exception_fp_ieee_underflow 0
		.amdhsa_exception_fp_ieee_inexact 0
		.amdhsa_exception_int_div_zero 0
	.end_amdhsa_kernel
	.section	.text._Z14shuffle_kernelIL17shuffle_test_type2EiEvPT0_jjm,"axG",@progbits,_Z14shuffle_kernelIL17shuffle_test_type2EiEvPT0_jjm,comdat
.Lfunc_end21:
	.size	_Z14shuffle_kernelIL17shuffle_test_type2EiEvPT0_jjm, .Lfunc_end21-_Z14shuffle_kernelIL17shuffle_test_type2EiEvPT0_jjm
                                        ; -- End function
	.section	.AMDGPU.csdata,"",@progbits
; Kernel info:
; codeLenInByte = 224
; NumSgprs: 18
; NumVgprs: 6
; ScratchSize: 0
; MemoryBound: 0
; FloatMode: 240
; IeeeMode: 1
; LDSByteSize: 0 bytes/workgroup (compile time only)
; SGPRBlocks: 2
; VGPRBlocks: 0
; NumSGPRsForWavesPerEU: 18
; NumVGPRsForWavesPerEU: 6
; Occupancy: 16
; WaveLimiterHint : 0
; COMPUTE_PGM_RSRC2:SCRATCH_EN: 0
; COMPUTE_PGM_RSRC2:USER_SGPR: 15
; COMPUTE_PGM_RSRC2:TRAP_HANDLER: 0
; COMPUTE_PGM_RSRC2:TGID_X_EN: 1
; COMPUTE_PGM_RSRC2:TGID_Y_EN: 0
; COMPUTE_PGM_RSRC2:TGID_Z_EN: 0
; COMPUTE_PGM_RSRC2:TIDIG_COMP_CNT: 0
	.section	.text._Z20shuffle_index_kernelI16custom_16alignedEvPT_Pij,"axG",@progbits,_Z20shuffle_index_kernelI16custom_16alignedEvPT_Pij,comdat
	.protected	_Z20shuffle_index_kernelI16custom_16alignedEvPT_Pij ; -- Begin function _Z20shuffle_index_kernelI16custom_16alignedEvPT_Pij
	.globl	_Z20shuffle_index_kernelI16custom_16alignedEvPT_Pij
	.p2align	8
	.type	_Z20shuffle_index_kernelI16custom_16alignedEvPT_Pij,@function
_Z20shuffle_index_kernelI16custom_16alignedEvPT_Pij: ; @_Z20shuffle_index_kernelI16custom_16alignedEvPT_Pij
; %bb.0:
	s_clause 0x2
	s_load_b32 s4, s[0:1], 0x10
	s_load_b32 s5, s[0:1], 0x24
	s_load_b128 s[0:3], s[0:1], 0x0
	v_mbcnt_lo_u32_b32 v6, -1, 0
	s_waitcnt lgkmcnt(0)
	v_cvt_f32_u32_e32 v1, s4
	s_sub_i32 s6, 0, s4
	s_and_b32 s5, s5, 0xffff
	v_and_b32_e32 v6, s6, v6
	s_delay_alu instid0(VALU_DEP_2) | instskip(SKIP_2) | instid1(VALU_DEP_1)
	v_rcp_iflag_f32_e32 v1, v1
	s_waitcnt_depctr 0xfff
	v_mul_f32_e32 v1, 0x4f7ffffe, v1
	v_cvt_u32_f32_e32 v1, v1
	s_delay_alu instid0(VALU_DEP_1) | instskip(NEXT) | instid1(VALU_DEP_1)
	v_mul_lo_u32 v2, s6, v1
	v_mul_hi_u32 v2, v1, v2
	s_delay_alu instid0(VALU_DEP_1) | instskip(NEXT) | instid1(VALU_DEP_1)
	v_add_nc_u32_e32 v1, v1, v2
	v_mul_hi_u32 v1, v0, v1
	s_delay_alu instid0(VALU_DEP_1) | instskip(SKIP_1) | instid1(VALU_DEP_2)
	v_mul_lo_u32 v2, v1, s4
	v_add_nc_u32_e32 v3, 1, v1
	v_sub_nc_u32_e32 v2, v0, v2
	s_delay_alu instid0(VALU_DEP_1) | instskip(SKIP_1) | instid1(VALU_DEP_2)
	v_subrev_nc_u32_e32 v4, s4, v2
	v_cmp_le_u32_e32 vcc_lo, s4, v2
	v_dual_cndmask_b32 v3, v1, v3 :: v_dual_cndmask_b32 v4, v2, v4
	v_mad_u64_u32 v[1:2], null, s15, s5, v[0:1]
	s_delay_alu instid0(VALU_DEP_2) | instskip(NEXT) | instid1(VALU_DEP_3)
	v_dual_mov_b32 v2, 0 :: v_dual_add_nc_u32 v5, 1, v3
	v_cmp_le_u32_e32 vcc_lo, s4, v4
	s_add_i32 s4, s4, -1
	s_delay_alu instid0(VALU_DEP_2) | instskip(NEXT) | instid1(VALU_DEP_1)
	v_cndmask_b32_e32 v0, v3, v5, vcc_lo
	v_lshlrev_b32_e32 v3, 2, v0
	v_lshlrev_b64 v[0:1], 4, v[1:2]
	global_load_b32 v5, v3, s[2:3]
	v_add_co_u32 v3, vcc_lo, s0, v0
	v_add_co_ci_u32_e32 v4, vcc_lo, s1, v1, vcc_lo
	global_load_b96 v[0:2], v[3:4], off
	s_waitcnt vmcnt(1)
	v_and_b32_e32 v5, s4, v5
	s_delay_alu instid0(VALU_DEP_1)
	v_add_lshl_u32 v5, v6, v5, 2
	s_waitcnt vmcnt(0)
	ds_bpermute_b32 v0, v5, v0
	ds_bpermute_b32 v1, v5, v1
	;; [unrolled: 1-line block ×3, first 2 shown]
	s_waitcnt lgkmcnt(0)
	global_store_b96 v[3:4], v[0:2], off
	s_nop 0
	s_sendmsg sendmsg(MSG_DEALLOC_VGPRS)
	s_endpgm
	.section	.rodata,"a",@progbits
	.p2align	6, 0x0
	.amdhsa_kernel _Z20shuffle_index_kernelI16custom_16alignedEvPT_Pij
		.amdhsa_group_segment_fixed_size 0
		.amdhsa_private_segment_fixed_size 0
		.amdhsa_kernarg_size 280
		.amdhsa_user_sgpr_count 15
		.amdhsa_user_sgpr_dispatch_ptr 0
		.amdhsa_user_sgpr_queue_ptr 0
		.amdhsa_user_sgpr_kernarg_segment_ptr 1
		.amdhsa_user_sgpr_dispatch_id 0
		.amdhsa_user_sgpr_private_segment_size 0
		.amdhsa_wavefront_size32 1
		.amdhsa_uses_dynamic_stack 0
		.amdhsa_enable_private_segment 0
		.amdhsa_system_sgpr_workgroup_id_x 1
		.amdhsa_system_sgpr_workgroup_id_y 0
		.amdhsa_system_sgpr_workgroup_id_z 0
		.amdhsa_system_sgpr_workgroup_info 0
		.amdhsa_system_vgpr_workitem_id 0
		.amdhsa_next_free_vgpr 7
		.amdhsa_next_free_sgpr 16
		.amdhsa_reserve_vcc 1
		.amdhsa_float_round_mode_32 0
		.amdhsa_float_round_mode_16_64 0
		.amdhsa_float_denorm_mode_32 3
		.amdhsa_float_denorm_mode_16_64 3
		.amdhsa_dx10_clamp 1
		.amdhsa_ieee_mode 1
		.amdhsa_fp16_overflow 0
		.amdhsa_workgroup_processor_mode 1
		.amdhsa_memory_ordered 1
		.amdhsa_forward_progress 0
		.amdhsa_shared_vgpr_count 0
		.amdhsa_exception_fp_ieee_invalid_op 0
		.amdhsa_exception_fp_denorm_src 0
		.amdhsa_exception_fp_ieee_div_zero 0
		.amdhsa_exception_fp_ieee_overflow 0
		.amdhsa_exception_fp_ieee_underflow 0
		.amdhsa_exception_fp_ieee_inexact 0
		.amdhsa_exception_int_div_zero 0
	.end_amdhsa_kernel
	.section	.text._Z20shuffle_index_kernelI16custom_16alignedEvPT_Pij,"axG",@progbits,_Z20shuffle_index_kernelI16custom_16alignedEvPT_Pij,comdat
.Lfunc_end22:
	.size	_Z20shuffle_index_kernelI16custom_16alignedEvPT_Pij, .Lfunc_end22-_Z20shuffle_index_kernelI16custom_16alignedEvPT_Pij
                                        ; -- End function
	.section	.AMDGPU.csdata,"",@progbits
; Kernel info:
; codeLenInByte = 308
; NumSgprs: 18
; NumVgprs: 7
; ScratchSize: 0
; MemoryBound: 0
; FloatMode: 240
; IeeeMode: 1
; LDSByteSize: 0 bytes/workgroup (compile time only)
; SGPRBlocks: 2
; VGPRBlocks: 0
; NumSGPRsForWavesPerEU: 18
; NumVGPRsForWavesPerEU: 7
; Occupancy: 16
; WaveLimiterHint : 0
; COMPUTE_PGM_RSRC2:SCRATCH_EN: 0
; COMPUTE_PGM_RSRC2:USER_SGPR: 15
; COMPUTE_PGM_RSRC2:TRAP_HANDLER: 0
; COMPUTE_PGM_RSRC2:TGID_X_EN: 1
; COMPUTE_PGM_RSRC2:TGID_Y_EN: 0
; COMPUTE_PGM_RSRC2:TGID_Z_EN: 0
; COMPUTE_PGM_RSRC2:TIDIG_COMP_CNT: 0
	.section	.text._Z20shuffle_index_kernelI17custom_notalignedEvPT_Pij,"axG",@progbits,_Z20shuffle_index_kernelI17custom_notalignedEvPT_Pij,comdat
	.protected	_Z20shuffle_index_kernelI17custom_notalignedEvPT_Pij ; -- Begin function _Z20shuffle_index_kernelI17custom_notalignedEvPT_Pij
	.globl	_Z20shuffle_index_kernelI17custom_notalignedEvPT_Pij
	.p2align	8
	.type	_Z20shuffle_index_kernelI17custom_notalignedEvPT_Pij,@function
_Z20shuffle_index_kernelI17custom_notalignedEvPT_Pij: ; @_Z20shuffle_index_kernelI17custom_notalignedEvPT_Pij
; %bb.0:
	s_clause 0x2
	s_load_b32 s4, s[0:1], 0x10
	s_load_b32 s5, s[0:1], 0x24
	s_load_b128 s[0:3], s[0:1], 0x0
	v_mbcnt_lo_u32_b32 v8, -1, 0
	s_waitcnt lgkmcnt(0)
	v_cvt_f32_u32_e32 v1, s4
	s_sub_i32 s6, 0, s4
	s_and_b32 s5, s5, 0xffff
	v_and_b32_e32 v8, s6, v8
	s_delay_alu instid0(VALU_DEP_2) | instskip(SKIP_2) | instid1(VALU_DEP_1)
	v_rcp_iflag_f32_e32 v1, v1
	s_waitcnt_depctr 0xfff
	v_mul_f32_e32 v1, 0x4f7ffffe, v1
	v_cvt_u32_f32_e32 v1, v1
	s_delay_alu instid0(VALU_DEP_1) | instskip(NEXT) | instid1(VALU_DEP_1)
	v_mul_lo_u32 v2, s6, v1
	v_mul_hi_u32 v2, v1, v2
	s_delay_alu instid0(VALU_DEP_1) | instskip(NEXT) | instid1(VALU_DEP_1)
	v_add_nc_u32_e32 v1, v1, v2
	v_mul_hi_u32 v1, v0, v1
	s_delay_alu instid0(VALU_DEP_1) | instskip(SKIP_1) | instid1(VALU_DEP_2)
	v_mul_lo_u32 v2, v1, s4
	v_add_nc_u32_e32 v3, 1, v1
	v_sub_nc_u32_e32 v2, v0, v2
	s_delay_alu instid0(VALU_DEP_1) | instskip(SKIP_1) | instid1(VALU_DEP_2)
	v_subrev_nc_u32_e32 v4, s4, v2
	v_cmp_le_u32_e32 vcc_lo, s4, v2
	v_dual_cndmask_b32 v2, v2, v4 :: v_dual_cndmask_b32 v1, v1, v3
	s_delay_alu instid0(VALU_DEP_1) | instskip(NEXT) | instid1(VALU_DEP_2)
	v_cmp_le_u32_e32 vcc_lo, s4, v2
	v_add_nc_u32_e32 v3, 1, v1
	s_add_i32 s4, s4, -1
	s_delay_alu instid0(VALU_DEP_1) | instskip(SKIP_1) | instid1(VALU_DEP_2)
	v_cndmask_b32_e32 v3, v1, v3, vcc_lo
	v_mad_u64_u32 v[1:2], null, s15, s5, v[0:1]
	v_lshlrev_b32_e32 v0, 2, v3
	s_delay_alu instid0(VALU_DEP_2)
	v_mad_u64_u32 v[4:5], null, v1, 24, s[0:1]
	global_load_b32 v6, v0, s[2:3]
	s_clause 0x1
	global_load_b32 v7, v[4:5], off
	global_load_b128 v[0:3], v[4:5], off offset:8
	s_waitcnt vmcnt(2)
	v_and_b32_e32 v6, s4, v6
	s_delay_alu instid0(VALU_DEP_1)
	v_add_lshl_u32 v6, v8, v6, 2
	s_waitcnt vmcnt(1)
	ds_bpermute_b32 v7, v6, v7
	s_waitcnt vmcnt(0)
	ds_bpermute_b32 v0, v6, v0
	ds_bpermute_b32 v1, v6, v1
	;; [unrolled: 1-line block ×4, first 2 shown]
	s_waitcnt lgkmcnt(4)
	v_and_b32_e32 v6, 0xffff, v7
	global_store_b32 v[4:5], v6, off
	s_waitcnt lgkmcnt(0)
	global_store_b128 v[4:5], v[0:3], off offset:8
	s_nop 0
	s_sendmsg sendmsg(MSG_DEALLOC_VGPRS)
	s_endpgm
	.section	.rodata,"a",@progbits
	.p2align	6, 0x0
	.amdhsa_kernel _Z20shuffle_index_kernelI17custom_notalignedEvPT_Pij
		.amdhsa_group_segment_fixed_size 0
		.amdhsa_private_segment_fixed_size 0
		.amdhsa_kernarg_size 280
		.amdhsa_user_sgpr_count 15
		.amdhsa_user_sgpr_dispatch_ptr 0
		.amdhsa_user_sgpr_queue_ptr 0
		.amdhsa_user_sgpr_kernarg_segment_ptr 1
		.amdhsa_user_sgpr_dispatch_id 0
		.amdhsa_user_sgpr_private_segment_size 0
		.amdhsa_wavefront_size32 1
		.amdhsa_uses_dynamic_stack 0
		.amdhsa_enable_private_segment 0
		.amdhsa_system_sgpr_workgroup_id_x 1
		.amdhsa_system_sgpr_workgroup_id_y 0
		.amdhsa_system_sgpr_workgroup_id_z 0
		.amdhsa_system_sgpr_workgroup_info 0
		.amdhsa_system_vgpr_workitem_id 0
		.amdhsa_next_free_vgpr 9
		.amdhsa_next_free_sgpr 16
		.amdhsa_reserve_vcc 1
		.amdhsa_float_round_mode_32 0
		.amdhsa_float_round_mode_16_64 0
		.amdhsa_float_denorm_mode_32 3
		.amdhsa_float_denorm_mode_16_64 3
		.amdhsa_dx10_clamp 1
		.amdhsa_ieee_mode 1
		.amdhsa_fp16_overflow 0
		.amdhsa_workgroup_processor_mode 1
		.amdhsa_memory_ordered 1
		.amdhsa_forward_progress 0
		.amdhsa_shared_vgpr_count 0
		.amdhsa_exception_fp_ieee_invalid_op 0
		.amdhsa_exception_fp_denorm_src 0
		.amdhsa_exception_fp_ieee_div_zero 0
		.amdhsa_exception_fp_ieee_overflow 0
		.amdhsa_exception_fp_ieee_underflow 0
		.amdhsa_exception_fp_ieee_inexact 0
		.amdhsa_exception_int_div_zero 0
	.end_amdhsa_kernel
	.section	.text._Z20shuffle_index_kernelI17custom_notalignedEvPT_Pij,"axG",@progbits,_Z20shuffle_index_kernelI17custom_notalignedEvPT_Pij,comdat
.Lfunc_end23:
	.size	_Z20shuffle_index_kernelI17custom_notalignedEvPT_Pij, .Lfunc_end23-_Z20shuffle_index_kernelI17custom_notalignedEvPT_Pij
                                        ; -- End function
	.section	.AMDGPU.csdata,"",@progbits
; Kernel info:
; codeLenInByte = 348
; NumSgprs: 18
; NumVgprs: 9
; ScratchSize: 0
; MemoryBound: 0
; FloatMode: 240
; IeeeMode: 1
; LDSByteSize: 0 bytes/workgroup (compile time only)
; SGPRBlocks: 2
; VGPRBlocks: 1
; NumSGPRsForWavesPerEU: 18
; NumVGPRsForWavesPerEU: 9
; Occupancy: 16
; WaveLimiterHint : 0
; COMPUTE_PGM_RSRC2:SCRATCH_EN: 0
; COMPUTE_PGM_RSRC2:USER_SGPR: 15
; COMPUTE_PGM_RSRC2:TRAP_HANDLER: 0
; COMPUTE_PGM_RSRC2:TGID_X_EN: 1
; COMPUTE_PGM_RSRC2:TGID_Y_EN: 0
; COMPUTE_PGM_RSRC2:TGID_Z_EN: 0
; COMPUTE_PGM_RSRC2:TIDIG_COMP_CNT: 0
	.section	.text._Z20shuffle_index_kernelIhEvPT_Pij,"axG",@progbits,_Z20shuffle_index_kernelIhEvPT_Pij,comdat
	.protected	_Z20shuffle_index_kernelIhEvPT_Pij ; -- Begin function _Z20shuffle_index_kernelIhEvPT_Pij
	.globl	_Z20shuffle_index_kernelIhEvPT_Pij
	.p2align	8
	.type	_Z20shuffle_index_kernelIhEvPT_Pij,@function
_Z20shuffle_index_kernelIhEvPT_Pij:     ; @_Z20shuffle_index_kernelIhEvPT_Pij
; %bb.0:
	s_clause 0x2
	s_load_b32 s4, s[0:1], 0x10
	s_load_b32 s5, s[0:1], 0x24
	s_load_b128 s[0:3], s[0:1], 0x0
	s_waitcnt lgkmcnt(0)
	v_cvt_f32_u32_e32 v1, s4
	s_sub_i32 s6, 0, s4
	s_delay_alu instid0(VALU_DEP_1) | instskip(SKIP_2) | instid1(VALU_DEP_1)
	v_rcp_iflag_f32_e32 v1, v1
	s_waitcnt_depctr 0xfff
	v_mul_f32_e32 v1, 0x4f7ffffe, v1
	v_cvt_u32_f32_e32 v1, v1
	s_delay_alu instid0(VALU_DEP_1) | instskip(NEXT) | instid1(VALU_DEP_1)
	v_mul_lo_u32 v2, s6, v1
	v_mul_hi_u32 v2, v1, v2
	s_delay_alu instid0(VALU_DEP_1) | instskip(NEXT) | instid1(VALU_DEP_1)
	v_add_nc_u32_e32 v1, v1, v2
	v_mul_hi_u32 v1, v0, v1
	s_delay_alu instid0(VALU_DEP_1) | instskip(SKIP_1) | instid1(VALU_DEP_2)
	v_mul_lo_u32 v2, v1, s4
	v_add_nc_u32_e32 v3, 1, v1
	v_sub_nc_u32_e32 v2, v0, v2
	s_delay_alu instid0(VALU_DEP_1) | instskip(SKIP_1) | instid1(VALU_DEP_2)
	v_subrev_nc_u32_e32 v4, s4, v2
	v_cmp_le_u32_e32 vcc_lo, s4, v2
	v_dual_cndmask_b32 v2, v2, v4 :: v_dual_cndmask_b32 v1, v1, v3
	s_delay_alu instid0(VALU_DEP_1) | instskip(NEXT) | instid1(VALU_DEP_2)
	v_cmp_le_u32_e32 vcc_lo, s4, v2
	v_add_nc_u32_e32 v3, 1, v1
	s_add_i32 s4, s4, -1
	s_delay_alu instid0(VALU_DEP_1) | instskip(NEXT) | instid1(VALU_DEP_1)
	v_cndmask_b32_e32 v1, v1, v3, vcc_lo
	v_lshlrev_b32_e32 v1, 2, v1
	global_load_b32 v3, v1, s[2:3]
	s_and_b32 s2, s5, 0xffff
	s_delay_alu instid0(SALU_CYCLE_1) | instskip(SKIP_1) | instid1(VALU_DEP_1)
	v_mad_u64_u32 v[1:2], null, s15, s2, v[0:1]
	v_mbcnt_lo_u32_b32 v2, -1, 0
	v_and_b32_e32 v2, s6, v2
	global_load_u8 v0, v1, s[0:1]
	s_waitcnt vmcnt(1)
	v_and_b32_e32 v3, s4, v3
	s_delay_alu instid0(VALU_DEP_1)
	v_add_lshl_u32 v2, v2, v3, 2
	s_waitcnt vmcnt(0)
	ds_bpermute_b32 v0, v2, v0
	s_waitcnt lgkmcnt(0)
	global_store_b8 v1, v0, s[0:1]
	s_nop 0
	s_sendmsg sendmsg(MSG_DEALLOC_VGPRS)
	s_endpgm
	.section	.rodata,"a",@progbits
	.p2align	6, 0x0
	.amdhsa_kernel _Z20shuffle_index_kernelIhEvPT_Pij
		.amdhsa_group_segment_fixed_size 0
		.amdhsa_private_segment_fixed_size 0
		.amdhsa_kernarg_size 280
		.amdhsa_user_sgpr_count 15
		.amdhsa_user_sgpr_dispatch_ptr 0
		.amdhsa_user_sgpr_queue_ptr 0
		.amdhsa_user_sgpr_kernarg_segment_ptr 1
		.amdhsa_user_sgpr_dispatch_id 0
		.amdhsa_user_sgpr_private_segment_size 0
		.amdhsa_wavefront_size32 1
		.amdhsa_uses_dynamic_stack 0
		.amdhsa_enable_private_segment 0
		.amdhsa_system_sgpr_workgroup_id_x 1
		.amdhsa_system_sgpr_workgroup_id_y 0
		.amdhsa_system_sgpr_workgroup_id_z 0
		.amdhsa_system_sgpr_workgroup_info 0
		.amdhsa_system_vgpr_workitem_id 0
		.amdhsa_next_free_vgpr 5
		.amdhsa_next_free_sgpr 16
		.amdhsa_reserve_vcc 1
		.amdhsa_float_round_mode_32 0
		.amdhsa_float_round_mode_16_64 0
		.amdhsa_float_denorm_mode_32 3
		.amdhsa_float_denorm_mode_16_64 3
		.amdhsa_dx10_clamp 1
		.amdhsa_ieee_mode 1
		.amdhsa_fp16_overflow 0
		.amdhsa_workgroup_processor_mode 1
		.amdhsa_memory_ordered 1
		.amdhsa_forward_progress 0
		.amdhsa_shared_vgpr_count 0
		.amdhsa_exception_fp_ieee_invalid_op 0
		.amdhsa_exception_fp_denorm_src 0
		.amdhsa_exception_fp_ieee_div_zero 0
		.amdhsa_exception_fp_ieee_overflow 0
		.amdhsa_exception_fp_ieee_underflow 0
		.amdhsa_exception_fp_ieee_inexact 0
		.amdhsa_exception_int_div_zero 0
	.end_amdhsa_kernel
	.section	.text._Z20shuffle_index_kernelIhEvPT_Pij,"axG",@progbits,_Z20shuffle_index_kernelIhEvPT_Pij,comdat
.Lfunc_end24:
	.size	_Z20shuffle_index_kernelIhEvPT_Pij, .Lfunc_end24-_Z20shuffle_index_kernelIhEvPT_Pij
                                        ; -- End function
	.section	.AMDGPU.csdata,"",@progbits
; Kernel info:
; codeLenInByte = 272
; NumSgprs: 18
; NumVgprs: 5
; ScratchSize: 0
; MemoryBound: 0
; FloatMode: 240
; IeeeMode: 1
; LDSByteSize: 0 bytes/workgroup (compile time only)
; SGPRBlocks: 2
; VGPRBlocks: 0
; NumSGPRsForWavesPerEU: 18
; NumVGPRsForWavesPerEU: 5
; Occupancy: 16
; WaveLimiterHint : 0
; COMPUTE_PGM_RSRC2:SCRATCH_EN: 0
; COMPUTE_PGM_RSRC2:USER_SGPR: 15
; COMPUTE_PGM_RSRC2:TRAP_HANDLER: 0
; COMPUTE_PGM_RSRC2:TGID_X_EN: 1
; COMPUTE_PGM_RSRC2:TGID_Y_EN: 0
; COMPUTE_PGM_RSRC2:TGID_Z_EN: 0
; COMPUTE_PGM_RSRC2:TIDIG_COMP_CNT: 0
	.section	.text._Z20shuffle_index_kernelIdEvPT_Pij,"axG",@progbits,_Z20shuffle_index_kernelIdEvPT_Pij,comdat
	.protected	_Z20shuffle_index_kernelIdEvPT_Pij ; -- Begin function _Z20shuffle_index_kernelIdEvPT_Pij
	.globl	_Z20shuffle_index_kernelIdEvPT_Pij
	.p2align	8
	.type	_Z20shuffle_index_kernelIdEvPT_Pij,@function
_Z20shuffle_index_kernelIdEvPT_Pij:     ; @_Z20shuffle_index_kernelIdEvPT_Pij
; %bb.0:
	s_clause 0x2
	s_load_b32 s4, s[0:1], 0x10
	s_load_b32 s5, s[0:1], 0x24
	s_load_b128 s[0:3], s[0:1], 0x0
	s_waitcnt lgkmcnt(0)
	v_cvt_f32_u32_e32 v1, s4
	s_sub_i32 s6, 0, s4
	s_and_b32 s5, s5, 0xffff
	s_delay_alu instid0(VALU_DEP_1) | instskip(SKIP_2) | instid1(VALU_DEP_1)
	v_rcp_iflag_f32_e32 v1, v1
	s_waitcnt_depctr 0xfff
	v_mul_f32_e32 v1, 0x4f7ffffe, v1
	v_cvt_u32_f32_e32 v1, v1
	s_delay_alu instid0(VALU_DEP_1) | instskip(NEXT) | instid1(VALU_DEP_1)
	v_mul_lo_u32 v2, s6, v1
	v_mul_hi_u32 v2, v1, v2
	s_delay_alu instid0(VALU_DEP_1) | instskip(NEXT) | instid1(VALU_DEP_1)
	v_add_nc_u32_e32 v1, v1, v2
	v_mul_hi_u32 v1, v0, v1
	s_delay_alu instid0(VALU_DEP_1) | instskip(SKIP_1) | instid1(VALU_DEP_2)
	v_mul_lo_u32 v2, v1, s4
	v_add_nc_u32_e32 v3, 1, v1
	v_sub_nc_u32_e32 v2, v0, v2
	s_delay_alu instid0(VALU_DEP_1) | instskip(SKIP_1) | instid1(VALU_DEP_2)
	v_subrev_nc_u32_e32 v4, s4, v2
	v_cmp_le_u32_e32 vcc_lo, s4, v2
	v_dual_cndmask_b32 v3, v1, v3 :: v_dual_cndmask_b32 v4, v2, v4
	v_mad_u64_u32 v[1:2], null, s15, s5, v[0:1]
	s_delay_alu instid0(VALU_DEP_2) | instskip(NEXT) | instid1(VALU_DEP_3)
	v_dual_mov_b32 v2, 0 :: v_dual_add_nc_u32 v5, 1, v3
	v_cmp_le_u32_e32 vcc_lo, s4, v4
	s_add_i32 s4, s4, -1
	s_delay_alu instid0(VALU_DEP_2) | instskip(SKIP_1) | instid1(VALU_DEP_2)
	v_cndmask_b32_e32 v0, v3, v5, vcc_lo
	v_mbcnt_lo_u32_b32 v5, -1, 0
	v_lshlrev_b32_e32 v3, 2, v0
	v_lshlrev_b64 v[0:1], 3, v[1:2]
	s_delay_alu instid0(VALU_DEP_3)
	v_and_b32_e32 v5, s6, v5
	global_load_b32 v4, v3, s[2:3]
	v_add_co_u32 v0, vcc_lo, s0, v0
	v_add_co_ci_u32_e32 v1, vcc_lo, s1, v1, vcc_lo
	global_load_b64 v[2:3], v[0:1], off
	s_waitcnt vmcnt(1)
	v_and_b32_e32 v4, s4, v4
	s_delay_alu instid0(VALU_DEP_1)
	v_add_lshl_u32 v4, v5, v4, 2
	s_waitcnt vmcnt(0)
	ds_bpermute_b32 v2, v4, v2
	ds_bpermute_b32 v3, v4, v3
	s_waitcnt lgkmcnt(0)
	global_store_b64 v[0:1], v[2:3], off
	s_nop 0
	s_sendmsg sendmsg(MSG_DEALLOC_VGPRS)
	s_endpgm
	.section	.rodata,"a",@progbits
	.p2align	6, 0x0
	.amdhsa_kernel _Z20shuffle_index_kernelIdEvPT_Pij
		.amdhsa_group_segment_fixed_size 0
		.amdhsa_private_segment_fixed_size 0
		.amdhsa_kernarg_size 280
		.amdhsa_user_sgpr_count 15
		.amdhsa_user_sgpr_dispatch_ptr 0
		.amdhsa_user_sgpr_queue_ptr 0
		.amdhsa_user_sgpr_kernarg_segment_ptr 1
		.amdhsa_user_sgpr_dispatch_id 0
		.amdhsa_user_sgpr_private_segment_size 0
		.amdhsa_wavefront_size32 1
		.amdhsa_uses_dynamic_stack 0
		.amdhsa_enable_private_segment 0
		.amdhsa_system_sgpr_workgroup_id_x 1
		.amdhsa_system_sgpr_workgroup_id_y 0
		.amdhsa_system_sgpr_workgroup_id_z 0
		.amdhsa_system_sgpr_workgroup_info 0
		.amdhsa_system_vgpr_workitem_id 0
		.amdhsa_next_free_vgpr 6
		.amdhsa_next_free_sgpr 16
		.amdhsa_reserve_vcc 1
		.amdhsa_float_round_mode_32 0
		.amdhsa_float_round_mode_16_64 0
		.amdhsa_float_denorm_mode_32 3
		.amdhsa_float_denorm_mode_16_64 3
		.amdhsa_dx10_clamp 1
		.amdhsa_ieee_mode 1
		.amdhsa_fp16_overflow 0
		.amdhsa_workgroup_processor_mode 1
		.amdhsa_memory_ordered 1
		.amdhsa_forward_progress 0
		.amdhsa_shared_vgpr_count 0
		.amdhsa_exception_fp_ieee_invalid_op 0
		.amdhsa_exception_fp_denorm_src 0
		.amdhsa_exception_fp_ieee_div_zero 0
		.amdhsa_exception_fp_ieee_overflow 0
		.amdhsa_exception_fp_ieee_underflow 0
		.amdhsa_exception_fp_ieee_inexact 0
		.amdhsa_exception_int_div_zero 0
	.end_amdhsa_kernel
	.section	.text._Z20shuffle_index_kernelIdEvPT_Pij,"axG",@progbits,_Z20shuffle_index_kernelIdEvPT_Pij,comdat
.Lfunc_end25:
	.size	_Z20shuffle_index_kernelIdEvPT_Pij, .Lfunc_end25-_Z20shuffle_index_kernelIdEvPT_Pij
                                        ; -- End function
	.section	.AMDGPU.csdata,"",@progbits
; Kernel info:
; codeLenInByte = 304
; NumSgprs: 18
; NumVgprs: 6
; ScratchSize: 0
; MemoryBound: 0
; FloatMode: 240
; IeeeMode: 1
; LDSByteSize: 0 bytes/workgroup (compile time only)
; SGPRBlocks: 2
; VGPRBlocks: 0
; NumSGPRsForWavesPerEU: 18
; NumVGPRsForWavesPerEU: 6
; Occupancy: 16
; WaveLimiterHint : 0
; COMPUTE_PGM_RSRC2:SCRATCH_EN: 0
; COMPUTE_PGM_RSRC2:USER_SGPR: 15
; COMPUTE_PGM_RSRC2:TRAP_HANDLER: 0
; COMPUTE_PGM_RSRC2:TGID_X_EN: 1
; COMPUTE_PGM_RSRC2:TGID_Y_EN: 0
; COMPUTE_PGM_RSRC2:TGID_Z_EN: 0
; COMPUTE_PGM_RSRC2:TIDIG_COMP_CNT: 0
	.section	.text._Z20shuffle_index_kernelIfEvPT_Pij,"axG",@progbits,_Z20shuffle_index_kernelIfEvPT_Pij,comdat
	.protected	_Z20shuffle_index_kernelIfEvPT_Pij ; -- Begin function _Z20shuffle_index_kernelIfEvPT_Pij
	.globl	_Z20shuffle_index_kernelIfEvPT_Pij
	.p2align	8
	.type	_Z20shuffle_index_kernelIfEvPT_Pij,@function
_Z20shuffle_index_kernelIfEvPT_Pij:     ; @_Z20shuffle_index_kernelIfEvPT_Pij
; %bb.0:
	s_clause 0x2
	s_load_b32 s4, s[0:1], 0x10
	s_load_b32 s5, s[0:1], 0x24
	s_load_b128 s[0:3], s[0:1], 0x0
	s_waitcnt lgkmcnt(0)
	v_cvt_f32_u32_e32 v1, s4
	s_sub_i32 s6, 0, s4
	s_and_b32 s5, s5, 0xffff
	s_delay_alu instid0(VALU_DEP_1) | instskip(SKIP_2) | instid1(VALU_DEP_1)
	v_rcp_iflag_f32_e32 v1, v1
	s_waitcnt_depctr 0xfff
	v_mul_f32_e32 v1, 0x4f7ffffe, v1
	v_cvt_u32_f32_e32 v1, v1
	s_delay_alu instid0(VALU_DEP_1) | instskip(NEXT) | instid1(VALU_DEP_1)
	v_mul_lo_u32 v2, s6, v1
	v_mul_hi_u32 v2, v1, v2
	s_delay_alu instid0(VALU_DEP_1) | instskip(NEXT) | instid1(VALU_DEP_1)
	v_add_nc_u32_e32 v1, v1, v2
	v_mul_hi_u32 v1, v0, v1
	s_delay_alu instid0(VALU_DEP_1) | instskip(SKIP_1) | instid1(VALU_DEP_2)
	v_mul_lo_u32 v2, v1, s4
	v_add_nc_u32_e32 v3, 1, v1
	v_sub_nc_u32_e32 v2, v0, v2
	s_delay_alu instid0(VALU_DEP_1) | instskip(SKIP_1) | instid1(VALU_DEP_2)
	v_subrev_nc_u32_e32 v4, s4, v2
	v_cmp_le_u32_e32 vcc_lo, s4, v2
	v_dual_cndmask_b32 v1, v1, v3 :: v_dual_cndmask_b32 v2, v2, v4
	v_mbcnt_lo_u32_b32 v4, -1, 0
	s_delay_alu instid0(VALU_DEP_2) | instskip(NEXT) | instid1(VALU_DEP_3)
	v_add_nc_u32_e32 v3, 1, v1
	v_cmp_le_u32_e32 vcc_lo, s4, v2
	s_add_i32 s4, s4, -1
	s_delay_alu instid0(VALU_DEP_2) | instskip(SKIP_1) | instid1(VALU_DEP_2)
	v_dual_cndmask_b32 v3, v1, v3 :: v_dual_and_b32 v4, s6, v4
	v_mad_u64_u32 v[1:2], null, s15, s5, v[0:1]
	v_dual_mov_b32 v2, 0 :: v_dual_lshlrev_b32 v3, 2, v3
	s_delay_alu instid0(VALU_DEP_1)
	v_lshlrev_b64 v[0:1], 2, v[1:2]
	global_load_b32 v2, v3, s[2:3]
	v_add_co_u32 v0, vcc_lo, s0, v0
	v_add_co_ci_u32_e32 v1, vcc_lo, s1, v1, vcc_lo
	global_load_b32 v3, v[0:1], off
	s_waitcnt vmcnt(1)
	v_and_b32_e32 v2, s4, v2
	s_delay_alu instid0(VALU_DEP_1)
	v_add_lshl_u32 v2, v4, v2, 2
	s_waitcnt vmcnt(0)
	ds_bpermute_b32 v2, v2, v3
	s_waitcnt lgkmcnt(0)
	global_store_b32 v[0:1], v2, off
	s_nop 0
	s_sendmsg sendmsg(MSG_DEALLOC_VGPRS)
	s_endpgm
	.section	.rodata,"a",@progbits
	.p2align	6, 0x0
	.amdhsa_kernel _Z20shuffle_index_kernelIfEvPT_Pij
		.amdhsa_group_segment_fixed_size 0
		.amdhsa_private_segment_fixed_size 0
		.amdhsa_kernarg_size 280
		.amdhsa_user_sgpr_count 15
		.amdhsa_user_sgpr_dispatch_ptr 0
		.amdhsa_user_sgpr_queue_ptr 0
		.amdhsa_user_sgpr_kernarg_segment_ptr 1
		.amdhsa_user_sgpr_dispatch_id 0
		.amdhsa_user_sgpr_private_segment_size 0
		.amdhsa_wavefront_size32 1
		.amdhsa_uses_dynamic_stack 0
		.amdhsa_enable_private_segment 0
		.amdhsa_system_sgpr_workgroup_id_x 1
		.amdhsa_system_sgpr_workgroup_id_y 0
		.amdhsa_system_sgpr_workgroup_id_z 0
		.amdhsa_system_sgpr_workgroup_info 0
		.amdhsa_system_vgpr_workitem_id 0
		.amdhsa_next_free_vgpr 5
		.amdhsa_next_free_sgpr 16
		.amdhsa_reserve_vcc 1
		.amdhsa_float_round_mode_32 0
		.amdhsa_float_round_mode_16_64 0
		.amdhsa_float_denorm_mode_32 3
		.amdhsa_float_denorm_mode_16_64 3
		.amdhsa_dx10_clamp 1
		.amdhsa_ieee_mode 1
		.amdhsa_fp16_overflow 0
		.amdhsa_workgroup_processor_mode 1
		.amdhsa_memory_ordered 1
		.amdhsa_forward_progress 0
		.amdhsa_shared_vgpr_count 0
		.amdhsa_exception_fp_ieee_invalid_op 0
		.amdhsa_exception_fp_denorm_src 0
		.amdhsa_exception_fp_ieee_div_zero 0
		.amdhsa_exception_fp_ieee_overflow 0
		.amdhsa_exception_fp_ieee_underflow 0
		.amdhsa_exception_fp_ieee_inexact 0
		.amdhsa_exception_int_div_zero 0
	.end_amdhsa_kernel
	.section	.text._Z20shuffle_index_kernelIfEvPT_Pij,"axG",@progbits,_Z20shuffle_index_kernelIfEvPT_Pij,comdat
.Lfunc_end26:
	.size	_Z20shuffle_index_kernelIfEvPT_Pij, .Lfunc_end26-_Z20shuffle_index_kernelIfEvPT_Pij
                                        ; -- End function
	.section	.AMDGPU.csdata,"",@progbits
; Kernel info:
; codeLenInByte = 296
; NumSgprs: 18
; NumVgprs: 5
; ScratchSize: 0
; MemoryBound: 0
; FloatMode: 240
; IeeeMode: 1
; LDSByteSize: 0 bytes/workgroup (compile time only)
; SGPRBlocks: 2
; VGPRBlocks: 0
; NumSGPRsForWavesPerEU: 18
; NumVGPRsForWavesPerEU: 5
; Occupancy: 16
; WaveLimiterHint : 0
; COMPUTE_PGM_RSRC2:SCRATCH_EN: 0
; COMPUTE_PGM_RSRC2:USER_SGPR: 15
; COMPUTE_PGM_RSRC2:TRAP_HANDLER: 0
; COMPUTE_PGM_RSRC2:TGID_X_EN: 1
; COMPUTE_PGM_RSRC2:TGID_Y_EN: 0
; COMPUTE_PGM_RSRC2:TGID_Z_EN: 0
; COMPUTE_PGM_RSRC2:TIDIG_COMP_CNT: 0
	.section	.text._Z20shuffle_index_kernelIiEvPT_Pij,"axG",@progbits,_Z20shuffle_index_kernelIiEvPT_Pij,comdat
	.protected	_Z20shuffle_index_kernelIiEvPT_Pij ; -- Begin function _Z20shuffle_index_kernelIiEvPT_Pij
	.globl	_Z20shuffle_index_kernelIiEvPT_Pij
	.p2align	8
	.type	_Z20shuffle_index_kernelIiEvPT_Pij,@function
_Z20shuffle_index_kernelIiEvPT_Pij:     ; @_Z20shuffle_index_kernelIiEvPT_Pij
; %bb.0:
	s_clause 0x2
	s_load_b32 s4, s[0:1], 0x10
	s_load_b32 s5, s[0:1], 0x24
	s_load_b128 s[0:3], s[0:1], 0x0
	s_waitcnt lgkmcnt(0)
	v_cvt_f32_u32_e32 v1, s4
	s_sub_i32 s6, 0, s4
	s_and_b32 s5, s5, 0xffff
	s_delay_alu instid0(VALU_DEP_1) | instskip(SKIP_2) | instid1(VALU_DEP_1)
	v_rcp_iflag_f32_e32 v1, v1
	s_waitcnt_depctr 0xfff
	v_mul_f32_e32 v1, 0x4f7ffffe, v1
	v_cvt_u32_f32_e32 v1, v1
	s_delay_alu instid0(VALU_DEP_1) | instskip(NEXT) | instid1(VALU_DEP_1)
	v_mul_lo_u32 v2, s6, v1
	v_mul_hi_u32 v2, v1, v2
	s_delay_alu instid0(VALU_DEP_1) | instskip(NEXT) | instid1(VALU_DEP_1)
	v_add_nc_u32_e32 v1, v1, v2
	v_mul_hi_u32 v1, v0, v1
	s_delay_alu instid0(VALU_DEP_1) | instskip(SKIP_1) | instid1(VALU_DEP_2)
	v_mul_lo_u32 v2, v1, s4
	v_add_nc_u32_e32 v3, 1, v1
	v_sub_nc_u32_e32 v2, v0, v2
	s_delay_alu instid0(VALU_DEP_1) | instskip(SKIP_1) | instid1(VALU_DEP_2)
	v_subrev_nc_u32_e32 v4, s4, v2
	v_cmp_le_u32_e32 vcc_lo, s4, v2
	v_dual_cndmask_b32 v1, v1, v3 :: v_dual_cndmask_b32 v2, v2, v4
	v_mbcnt_lo_u32_b32 v4, -1, 0
	s_delay_alu instid0(VALU_DEP_2) | instskip(NEXT) | instid1(VALU_DEP_3)
	v_add_nc_u32_e32 v3, 1, v1
	v_cmp_le_u32_e32 vcc_lo, s4, v2
	s_add_i32 s4, s4, -1
	s_delay_alu instid0(VALU_DEP_2) | instskip(SKIP_1) | instid1(VALU_DEP_2)
	v_dual_cndmask_b32 v3, v1, v3 :: v_dual_and_b32 v4, s6, v4
	v_mad_u64_u32 v[1:2], null, s15, s5, v[0:1]
	v_dual_mov_b32 v2, 0 :: v_dual_lshlrev_b32 v3, 2, v3
	s_delay_alu instid0(VALU_DEP_1)
	v_lshlrev_b64 v[0:1], 2, v[1:2]
	global_load_b32 v2, v3, s[2:3]
	v_add_co_u32 v0, vcc_lo, s0, v0
	v_add_co_ci_u32_e32 v1, vcc_lo, s1, v1, vcc_lo
	global_load_b32 v3, v[0:1], off
	s_waitcnt vmcnt(1)
	v_and_b32_e32 v2, s4, v2
	s_delay_alu instid0(VALU_DEP_1)
	v_add_lshl_u32 v2, v4, v2, 2
	s_waitcnt vmcnt(0)
	ds_bpermute_b32 v2, v2, v3
	s_waitcnt lgkmcnt(0)
	global_store_b32 v[0:1], v2, off
	s_nop 0
	s_sendmsg sendmsg(MSG_DEALLOC_VGPRS)
	s_endpgm
	.section	.rodata,"a",@progbits
	.p2align	6, 0x0
	.amdhsa_kernel _Z20shuffle_index_kernelIiEvPT_Pij
		.amdhsa_group_segment_fixed_size 0
		.amdhsa_private_segment_fixed_size 0
		.amdhsa_kernarg_size 280
		.amdhsa_user_sgpr_count 15
		.amdhsa_user_sgpr_dispatch_ptr 0
		.amdhsa_user_sgpr_queue_ptr 0
		.amdhsa_user_sgpr_kernarg_segment_ptr 1
		.amdhsa_user_sgpr_dispatch_id 0
		.amdhsa_user_sgpr_private_segment_size 0
		.amdhsa_wavefront_size32 1
		.amdhsa_uses_dynamic_stack 0
		.amdhsa_enable_private_segment 0
		.amdhsa_system_sgpr_workgroup_id_x 1
		.amdhsa_system_sgpr_workgroup_id_y 0
		.amdhsa_system_sgpr_workgroup_id_z 0
		.amdhsa_system_sgpr_workgroup_info 0
		.amdhsa_system_vgpr_workitem_id 0
		.amdhsa_next_free_vgpr 5
		.amdhsa_next_free_sgpr 16
		.amdhsa_reserve_vcc 1
		.amdhsa_float_round_mode_32 0
		.amdhsa_float_round_mode_16_64 0
		.amdhsa_float_denorm_mode_32 3
		.amdhsa_float_denorm_mode_16_64 3
		.amdhsa_dx10_clamp 1
		.amdhsa_ieee_mode 1
		.amdhsa_fp16_overflow 0
		.amdhsa_workgroup_processor_mode 1
		.amdhsa_memory_ordered 1
		.amdhsa_forward_progress 0
		.amdhsa_shared_vgpr_count 0
		.amdhsa_exception_fp_ieee_invalid_op 0
		.amdhsa_exception_fp_denorm_src 0
		.amdhsa_exception_fp_ieee_div_zero 0
		.amdhsa_exception_fp_ieee_overflow 0
		.amdhsa_exception_fp_ieee_underflow 0
		.amdhsa_exception_fp_ieee_inexact 0
		.amdhsa_exception_int_div_zero 0
	.end_amdhsa_kernel
	.section	.text._Z20shuffle_index_kernelIiEvPT_Pij,"axG",@progbits,_Z20shuffle_index_kernelIiEvPT_Pij,comdat
.Lfunc_end27:
	.size	_Z20shuffle_index_kernelIiEvPT_Pij, .Lfunc_end27-_Z20shuffle_index_kernelIiEvPT_Pij
                                        ; -- End function
	.section	.AMDGPU.csdata,"",@progbits
; Kernel info:
; codeLenInByte = 296
; NumSgprs: 18
; NumVgprs: 5
; ScratchSize: 0
; MemoryBound: 0
; FloatMode: 240
; IeeeMode: 1
; LDSByteSize: 0 bytes/workgroup (compile time only)
; SGPRBlocks: 2
; VGPRBlocks: 0
; NumSGPRsForWavesPerEU: 18
; NumVGPRsForWavesPerEU: 5
; Occupancy: 16
; WaveLimiterHint : 0
; COMPUTE_PGM_RSRC2:SCRATCH_EN: 0
; COMPUTE_PGM_RSRC2:USER_SGPR: 15
; COMPUTE_PGM_RSRC2:TRAP_HANDLER: 0
; COMPUTE_PGM_RSRC2:TGID_X_EN: 1
; COMPUTE_PGM_RSRC2:TGID_Y_EN: 0
; COMPUTE_PGM_RSRC2:TGID_Z_EN: 0
; COMPUTE_PGM_RSRC2:TIDIG_COMP_CNT: 0
	.section	.text._Z19warp_any_all_kernelIL22warp_any_all_test_type0EEvPjPKmm,"axG",@progbits,_Z19warp_any_all_kernelIL22warp_any_all_test_type0EEvPjPKmm,comdat
	.protected	_Z19warp_any_all_kernelIL22warp_any_all_test_type0EEvPjPKmm ; -- Begin function _Z19warp_any_all_kernelIL22warp_any_all_test_type0EEvPjPKmm
	.globl	_Z19warp_any_all_kernelIL22warp_any_all_test_type0EEvPjPKmm
	.p2align	8
	.type	_Z19warp_any_all_kernelIL22warp_any_all_test_type0EEvPjPKmm,@function
_Z19warp_any_all_kernelIL22warp_any_all_test_type0EEvPjPKmm: ; @_Z19warp_any_all_kernelIL22warp_any_all_test_type0EEvPjPKmm
; %bb.0:
	s_load_b64 s[4:5], s[0:1], 0x10
	s_waitcnt lgkmcnt(0)
	s_clause 0x1
	s_load_b32 s5, s[0:1], 0x24
	s_load_b128 s[0:3], s[0:1], 0x0
	v_mbcnt_lo_u32_b32 v3, -1, 0
	s_delay_alu instid0(VALU_DEP_1) | instskip(SKIP_2) | instid1(VALU_DEP_1)
	v_lshrrev_b32_e64 v1, v3, s4
	s_waitcnt lgkmcnt(0)
	s_and_b32 s4, s5, 0xffff
	v_and_b32_e32 v4, 1, v1
	v_mad_u64_u32 v[1:2], null, s15, s4, v[0:1]
	v_mov_b32_e32 v2, 0
	v_mov_b32_e32 v0, 0xaa
	s_mov_b32 s4, exec_lo
	v_cmpx_eq_u32_e32 1, v4
	s_cbranch_execz .LBB28_2
; %bb.1:
	s_delay_alu instid0(VALU_DEP_4) | instskip(NEXT) | instid1(VALU_DEP_1)
	v_lshrrev_b32_e32 v0, 2, v1
	v_and_b32_e32 v0, 0x3ffffff8, v0
	global_load_b64 v[4:5], v0, s[2:3]
	s_waitcnt vmcnt(0)
	v_lshrrev_b64 v[3:4], v3, v[4:5]
	s_delay_alu instid0(VALU_DEP_1) | instskip(SKIP_1) | instid1(VALU_DEP_1)
	v_and_b32_e32 v0, 1, v3
	;;#ASMSTART
	;;#ASMEND
	v_cmp_ne_u32_e32 vcc_lo, 0, v0
	s_cmp_lg_u32 vcc_lo, 0
	s_cselect_b32 s2, -1, 0
	s_delay_alu instid0(SALU_CYCLE_1)
	v_cndmask_b32_e64 v0, 0, 1, s2
.LBB28_2:
	s_or_b32 exec_lo, exec_lo, s4
	s_delay_alu instid0(VALU_DEP_4) | instskip(NEXT) | instid1(VALU_DEP_1)
	v_lshlrev_b64 v[1:2], 2, v[1:2]
	v_add_co_u32 v1, vcc_lo, s0, v1
	s_delay_alu instid0(VALU_DEP_2)
	v_add_co_ci_u32_e32 v2, vcc_lo, s1, v2, vcc_lo
	global_store_b32 v[1:2], v0, off
	s_nop 0
	s_sendmsg sendmsg(MSG_DEALLOC_VGPRS)
	s_endpgm
	.section	.rodata,"a",@progbits
	.p2align	6, 0x0
	.amdhsa_kernel _Z19warp_any_all_kernelIL22warp_any_all_test_type0EEvPjPKmm
		.amdhsa_group_segment_fixed_size 0
		.amdhsa_private_segment_fixed_size 0
		.amdhsa_kernarg_size 280
		.amdhsa_user_sgpr_count 15
		.amdhsa_user_sgpr_dispatch_ptr 0
		.amdhsa_user_sgpr_queue_ptr 0
		.amdhsa_user_sgpr_kernarg_segment_ptr 1
		.amdhsa_user_sgpr_dispatch_id 0
		.amdhsa_user_sgpr_private_segment_size 0
		.amdhsa_wavefront_size32 1
		.amdhsa_uses_dynamic_stack 0
		.amdhsa_enable_private_segment 0
		.amdhsa_system_sgpr_workgroup_id_x 1
		.amdhsa_system_sgpr_workgroup_id_y 0
		.amdhsa_system_sgpr_workgroup_id_z 0
		.amdhsa_system_sgpr_workgroup_info 0
		.amdhsa_system_vgpr_workitem_id 0
		.amdhsa_next_free_vgpr 6
		.amdhsa_next_free_sgpr 16
		.amdhsa_reserve_vcc 1
		.amdhsa_float_round_mode_32 0
		.amdhsa_float_round_mode_16_64 0
		.amdhsa_float_denorm_mode_32 3
		.amdhsa_float_denorm_mode_16_64 3
		.amdhsa_dx10_clamp 1
		.amdhsa_ieee_mode 1
		.amdhsa_fp16_overflow 0
		.amdhsa_workgroup_processor_mode 1
		.amdhsa_memory_ordered 1
		.amdhsa_forward_progress 0
		.amdhsa_shared_vgpr_count 0
		.amdhsa_exception_fp_ieee_invalid_op 0
		.amdhsa_exception_fp_denorm_src 0
		.amdhsa_exception_fp_ieee_div_zero 0
		.amdhsa_exception_fp_ieee_overflow 0
		.amdhsa_exception_fp_ieee_underflow 0
		.amdhsa_exception_fp_ieee_inexact 0
		.amdhsa_exception_int_div_zero 0
	.end_amdhsa_kernel
	.section	.text._Z19warp_any_all_kernelIL22warp_any_all_test_type0EEvPjPKmm,"axG",@progbits,_Z19warp_any_all_kernelIL22warp_any_all_test_type0EEvPjPKmm,comdat
.Lfunc_end28:
	.size	_Z19warp_any_all_kernelIL22warp_any_all_test_type0EEvPjPKmm, .Lfunc_end28-_Z19warp_any_all_kernelIL22warp_any_all_test_type0EEvPjPKmm
                                        ; -- End function
	.section	.AMDGPU.csdata,"",@progbits
; Kernel info:
; codeLenInByte = 220
; NumSgprs: 18
; NumVgprs: 6
; ScratchSize: 0
; MemoryBound: 0
; FloatMode: 240
; IeeeMode: 1
; LDSByteSize: 0 bytes/workgroup (compile time only)
; SGPRBlocks: 2
; VGPRBlocks: 0
; NumSGPRsForWavesPerEU: 18
; NumVGPRsForWavesPerEU: 6
; Occupancy: 16
; WaveLimiterHint : 0
; COMPUTE_PGM_RSRC2:SCRATCH_EN: 0
; COMPUTE_PGM_RSRC2:USER_SGPR: 15
; COMPUTE_PGM_RSRC2:TRAP_HANDLER: 0
; COMPUTE_PGM_RSRC2:TGID_X_EN: 1
; COMPUTE_PGM_RSRC2:TGID_Y_EN: 0
; COMPUTE_PGM_RSRC2:TGID_Z_EN: 0
; COMPUTE_PGM_RSRC2:TIDIG_COMP_CNT: 0
	.section	.text._Z19warp_any_all_kernelIL22warp_any_all_test_type1EEvPjPKmm,"axG",@progbits,_Z19warp_any_all_kernelIL22warp_any_all_test_type1EEvPjPKmm,comdat
	.protected	_Z19warp_any_all_kernelIL22warp_any_all_test_type1EEvPjPKmm ; -- Begin function _Z19warp_any_all_kernelIL22warp_any_all_test_type1EEvPjPKmm
	.globl	_Z19warp_any_all_kernelIL22warp_any_all_test_type1EEvPjPKmm
	.p2align	8
	.type	_Z19warp_any_all_kernelIL22warp_any_all_test_type1EEvPjPKmm,@function
_Z19warp_any_all_kernelIL22warp_any_all_test_type1EEvPjPKmm: ; @_Z19warp_any_all_kernelIL22warp_any_all_test_type1EEvPjPKmm
; %bb.0:
	s_load_b64 s[4:5], s[0:1], 0x10
	s_waitcnt lgkmcnt(0)
	s_clause 0x1
	s_load_b32 s5, s[0:1], 0x24
	s_load_b128 s[0:3], s[0:1], 0x0
	v_mbcnt_lo_u32_b32 v3, -1, 0
	s_delay_alu instid0(VALU_DEP_1) | instskip(SKIP_2) | instid1(VALU_DEP_1)
	v_lshrrev_b32_e64 v1, v3, s4
	s_waitcnt lgkmcnt(0)
	s_and_b32 s4, s5, 0xffff
	v_and_b32_e32 v4, 1, v1
	v_mad_u64_u32 v[1:2], null, s15, s4, v[0:1]
	v_mov_b32_e32 v2, 0
	v_mov_b32_e32 v0, 0xaa
	s_mov_b32 s4, exec_lo
	v_cmpx_eq_u32_e32 1, v4
	s_cbranch_execz .LBB29_2
; %bb.1:
	s_delay_alu instid0(VALU_DEP_4) | instskip(NEXT) | instid1(VALU_DEP_1)
	v_lshrrev_b32_e32 v0, 2, v1
	v_and_b32_e32 v0, 0x3ffffff8, v0
	global_load_b64 v[4:5], v0, s[2:3]
	s_waitcnt vmcnt(0)
	v_lshrrev_b64 v[3:4], v3, v[4:5]
	s_delay_alu instid0(VALU_DEP_1) | instskip(SKIP_1) | instid1(VALU_DEP_1)
	v_and_b32_e32 v0, 1, v3
	;;#ASMSTART
	;;#ASMEND
	v_cmp_ne_u32_e32 vcc_lo, 0, v0
	s_cmp_eq_u32 vcc_lo, exec_lo
	s_cselect_b32 s2, -1, 0
	s_delay_alu instid0(SALU_CYCLE_1)
	v_cndmask_b32_e64 v0, 0, 1, s2
.LBB29_2:
	s_or_b32 exec_lo, exec_lo, s4
	s_delay_alu instid0(VALU_DEP_4) | instskip(NEXT) | instid1(VALU_DEP_1)
	v_lshlrev_b64 v[1:2], 2, v[1:2]
	v_add_co_u32 v1, vcc_lo, s0, v1
	s_delay_alu instid0(VALU_DEP_2)
	v_add_co_ci_u32_e32 v2, vcc_lo, s1, v2, vcc_lo
	global_store_b32 v[1:2], v0, off
	s_nop 0
	s_sendmsg sendmsg(MSG_DEALLOC_VGPRS)
	s_endpgm
	.section	.rodata,"a",@progbits
	.p2align	6, 0x0
	.amdhsa_kernel _Z19warp_any_all_kernelIL22warp_any_all_test_type1EEvPjPKmm
		.amdhsa_group_segment_fixed_size 0
		.amdhsa_private_segment_fixed_size 0
		.amdhsa_kernarg_size 280
		.amdhsa_user_sgpr_count 15
		.amdhsa_user_sgpr_dispatch_ptr 0
		.amdhsa_user_sgpr_queue_ptr 0
		.amdhsa_user_sgpr_kernarg_segment_ptr 1
		.amdhsa_user_sgpr_dispatch_id 0
		.amdhsa_user_sgpr_private_segment_size 0
		.amdhsa_wavefront_size32 1
		.amdhsa_uses_dynamic_stack 0
		.amdhsa_enable_private_segment 0
		.amdhsa_system_sgpr_workgroup_id_x 1
		.amdhsa_system_sgpr_workgroup_id_y 0
		.amdhsa_system_sgpr_workgroup_id_z 0
		.amdhsa_system_sgpr_workgroup_info 0
		.amdhsa_system_vgpr_workitem_id 0
		.amdhsa_next_free_vgpr 6
		.amdhsa_next_free_sgpr 16
		.amdhsa_reserve_vcc 1
		.amdhsa_float_round_mode_32 0
		.amdhsa_float_round_mode_16_64 0
		.amdhsa_float_denorm_mode_32 3
		.amdhsa_float_denorm_mode_16_64 3
		.amdhsa_dx10_clamp 1
		.amdhsa_ieee_mode 1
		.amdhsa_fp16_overflow 0
		.amdhsa_workgroup_processor_mode 1
		.amdhsa_memory_ordered 1
		.amdhsa_forward_progress 0
		.amdhsa_shared_vgpr_count 0
		.amdhsa_exception_fp_ieee_invalid_op 0
		.amdhsa_exception_fp_denorm_src 0
		.amdhsa_exception_fp_ieee_div_zero 0
		.amdhsa_exception_fp_ieee_overflow 0
		.amdhsa_exception_fp_ieee_underflow 0
		.amdhsa_exception_fp_ieee_inexact 0
		.amdhsa_exception_int_div_zero 0
	.end_amdhsa_kernel
	.section	.text._Z19warp_any_all_kernelIL22warp_any_all_test_type1EEvPjPKmm,"axG",@progbits,_Z19warp_any_all_kernelIL22warp_any_all_test_type1EEvPjPKmm,comdat
.Lfunc_end29:
	.size	_Z19warp_any_all_kernelIL22warp_any_all_test_type1EEvPjPKmm, .Lfunc_end29-_Z19warp_any_all_kernelIL22warp_any_all_test_type1EEvPjPKmm
                                        ; -- End function
	.section	.AMDGPU.csdata,"",@progbits
; Kernel info:
; codeLenInByte = 220
; NumSgprs: 18
; NumVgprs: 6
; ScratchSize: 0
; MemoryBound: 0
; FloatMode: 240
; IeeeMode: 1
; LDSByteSize: 0 bytes/workgroup (compile time only)
; SGPRBlocks: 2
; VGPRBlocks: 0
; NumSGPRsForWavesPerEU: 18
; NumVGPRsForWavesPerEU: 6
; Occupancy: 16
; WaveLimiterHint : 0
; COMPUTE_PGM_RSRC2:SCRATCH_EN: 0
; COMPUTE_PGM_RSRC2:USER_SGPR: 15
; COMPUTE_PGM_RSRC2:TRAP_HANDLER: 0
; COMPUTE_PGM_RSRC2:TGID_X_EN: 1
; COMPUTE_PGM_RSRC2:TGID_Y_EN: 0
; COMPUTE_PGM_RSRC2:TGID_Z_EN: 0
; COMPUTE_PGM_RSRC2:TIDIG_COMP_CNT: 0
	.section	.text._Z19warp_permute_kernelI16custom_16alignedEvPT_PKS1_PKjjm,"axG",@progbits,_Z19warp_permute_kernelI16custom_16alignedEvPT_PKS1_PKjjm,comdat
	.protected	_Z19warp_permute_kernelI16custom_16alignedEvPT_PKS1_PKjjm ; -- Begin function _Z19warp_permute_kernelI16custom_16alignedEvPT_PKS1_PKjjm
	.globl	_Z19warp_permute_kernelI16custom_16alignedEvPT_PKS1_PKjjm
	.p2align	8
	.type	_Z19warp_permute_kernelI16custom_16alignedEvPT_PKS1_PKjjm,@function
_Z19warp_permute_kernelI16custom_16alignedEvPT_PKS1_PKjjm: ; @_Z19warp_permute_kernelI16custom_16alignedEvPT_PKS1_PKjjm
; %bb.0:
	s_clause 0x1
	s_load_b32 s8, s[0:1], 0x20
	s_load_b32 s9, s[0:1], 0x34
	v_mbcnt_lo_u32_b32 v7, -1, 0
	s_clause 0x1
	s_load_b128 s[4:7], s[0:1], 0x0
	s_load_b64 s[2:3], s[0:1], 0x10
	s_waitcnt lgkmcnt(0)
	v_lshrrev_b32_e64 v1, v7, s8
	s_and_b32 s8, s9, 0xffff
	s_delay_alu instid0(VALU_DEP_1) | instid1(SALU_CYCLE_1)
	v_mad_u64_u32 v[5:6], null, s15, s8, v[0:1]
	v_mov_b32_e32 v6, 0
	v_dual_mov_b32 v1, 0xaa :: v_dual_and_b32 v2, 1, v1
	v_mov_b32_e32 v0, 0xaa
	s_delay_alu instid0(VALU_DEP_2) | instskip(NEXT) | instid1(VALU_DEP_4)
	v_cmp_eq_u32_e32 vcc_lo, 1, v2
	v_lshlrev_b64 v[3:4], 4, v[5:6]
	v_mov_b32_e32 v2, 0x432a0000
	s_and_saveexec_b32 s8, vcc_lo
	s_cbranch_execz .LBB30_2
; %bb.1:
	v_lshlrev_b64 v[0:1], 2, v[5:6]
	s_load_b32 s0, s[0:1], 0x18
	s_delay_alu instid0(VALU_DEP_1) | instskip(NEXT) | instid1(VALU_DEP_2)
	v_add_co_u32 v0, vcc_lo, s2, v0
	v_add_co_ci_u32_e32 v1, vcc_lo, s3, v1, vcc_lo
	global_load_b32 v2, v[0:1], off
	v_add_co_u32 v0, vcc_lo, s6, v3
	v_add_co_ci_u32_e32 v1, vcc_lo, s7, v4, vcc_lo
	global_load_b128 v[8:11], v[0:1], off
	s_waitcnt lgkmcnt(0)
	s_sub_i32 s1, 0, s0
	s_add_i32 s0, s0, -1
	v_and_b32_e32 v0, s1, v7
	s_waitcnt vmcnt(1)
	v_and_b32_e32 v1, s0, v2
	s_delay_alu instid0(VALU_DEP_1)
	v_add_lshl_u32 v2, v1, v0, 2
	s_waitcnt vmcnt(0)
	ds_permute_b32 v0, v2, v8
	ds_permute_b32 v1, v2, v9
	;; [unrolled: 1-line block ×3, first 2 shown]
.LBB30_2:
	s_or_b32 exec_lo, exec_lo, s8
	s_delay_alu instid0(VALU_DEP_2)
	v_add_co_u32 v3, vcc_lo, s4, v3
	v_add_co_ci_u32_e32 v4, vcc_lo, s5, v4, vcc_lo
	s_waitcnt lgkmcnt(0)
	global_store_b96 v[3:4], v[0:2], off
	s_nop 0
	s_sendmsg sendmsg(MSG_DEALLOC_VGPRS)
	s_endpgm
	.section	.rodata,"a",@progbits
	.p2align	6, 0x0
	.amdhsa_kernel _Z19warp_permute_kernelI16custom_16alignedEvPT_PKS1_PKjjm
		.amdhsa_group_segment_fixed_size 0
		.amdhsa_private_segment_fixed_size 0
		.amdhsa_kernarg_size 296
		.amdhsa_user_sgpr_count 15
		.amdhsa_user_sgpr_dispatch_ptr 0
		.amdhsa_user_sgpr_queue_ptr 0
		.amdhsa_user_sgpr_kernarg_segment_ptr 1
		.amdhsa_user_sgpr_dispatch_id 0
		.amdhsa_user_sgpr_private_segment_size 0
		.amdhsa_wavefront_size32 1
		.amdhsa_uses_dynamic_stack 0
		.amdhsa_enable_private_segment 0
		.amdhsa_system_sgpr_workgroup_id_x 1
		.amdhsa_system_sgpr_workgroup_id_y 0
		.amdhsa_system_sgpr_workgroup_id_z 0
		.amdhsa_system_sgpr_workgroup_info 0
		.amdhsa_system_vgpr_workitem_id 0
		.amdhsa_next_free_vgpr 12
		.amdhsa_next_free_sgpr 16
		.amdhsa_reserve_vcc 1
		.amdhsa_float_round_mode_32 0
		.amdhsa_float_round_mode_16_64 0
		.amdhsa_float_denorm_mode_32 3
		.amdhsa_float_denorm_mode_16_64 3
		.amdhsa_dx10_clamp 1
		.amdhsa_ieee_mode 1
		.amdhsa_fp16_overflow 0
		.amdhsa_workgroup_processor_mode 1
		.amdhsa_memory_ordered 1
		.amdhsa_forward_progress 0
		.amdhsa_shared_vgpr_count 0
		.amdhsa_exception_fp_ieee_invalid_op 0
		.amdhsa_exception_fp_denorm_src 0
		.amdhsa_exception_fp_ieee_div_zero 0
		.amdhsa_exception_fp_ieee_overflow 0
		.amdhsa_exception_fp_ieee_underflow 0
		.amdhsa_exception_fp_ieee_inexact 0
		.amdhsa_exception_int_div_zero 0
	.end_amdhsa_kernel
	.section	.text._Z19warp_permute_kernelI16custom_16alignedEvPT_PKS1_PKjjm,"axG",@progbits,_Z19warp_permute_kernelI16custom_16alignedEvPT_PKS1_PKjjm,comdat
.Lfunc_end30:
	.size	_Z19warp_permute_kernelI16custom_16alignedEvPT_PKS1_PKjjm, .Lfunc_end30-_Z19warp_permute_kernelI16custom_16alignedEvPT_PKS1_PKjjm
                                        ; -- End function
	.section	.AMDGPU.csdata,"",@progbits
; Kernel info:
; codeLenInByte = 304
; NumSgprs: 18
; NumVgprs: 12
; ScratchSize: 0
; MemoryBound: 0
; FloatMode: 240
; IeeeMode: 1
; LDSByteSize: 0 bytes/workgroup (compile time only)
; SGPRBlocks: 2
; VGPRBlocks: 1
; NumSGPRsForWavesPerEU: 18
; NumVGPRsForWavesPerEU: 12
; Occupancy: 16
; WaveLimiterHint : 0
; COMPUTE_PGM_RSRC2:SCRATCH_EN: 0
; COMPUTE_PGM_RSRC2:USER_SGPR: 15
; COMPUTE_PGM_RSRC2:TRAP_HANDLER: 0
; COMPUTE_PGM_RSRC2:TGID_X_EN: 1
; COMPUTE_PGM_RSRC2:TGID_Y_EN: 0
; COMPUTE_PGM_RSRC2:TGID_Z_EN: 0
; COMPUTE_PGM_RSRC2:TIDIG_COMP_CNT: 0
	.section	.text._Z19warp_permute_kernelI17custom_notalignedEvPT_PKS1_PKjjm,"axG",@progbits,_Z19warp_permute_kernelI17custom_notalignedEvPT_PKS1_PKjjm,comdat
	.protected	_Z19warp_permute_kernelI17custom_notalignedEvPT_PKS1_PKjjm ; -- Begin function _Z19warp_permute_kernelI17custom_notalignedEvPT_PKS1_PKjjm
	.globl	_Z19warp_permute_kernelI17custom_notalignedEvPT_PKS1_PKjjm
	.p2align	8
	.type	_Z19warp_permute_kernelI17custom_notalignedEvPT_PKS1_PKjjm,@function
_Z19warp_permute_kernelI17custom_notalignedEvPT_PKS1_PKjjm: ; @_Z19warp_permute_kernelI17custom_notalignedEvPT_PKS1_PKjjm
; %bb.0:
	s_clause 0x1
	s_load_b32 s8, s[0:1], 0x20
	s_load_b32 s9, s[0:1], 0x34
	v_mbcnt_lo_u32_b32 v7, -1, 0
	s_clause 0x1
	s_load_b128 s[4:7], s[0:1], 0x0
	s_load_b64 s[2:3], s[0:1], 0x10
	v_dual_mov_b32 v8, 0xaa :: v_dual_mov_b32 v1, 0
	v_mov_b32_e32 v2, 0x40654000
	s_waitcnt lgkmcnt(0)
	v_lshrrev_b32_e64 v4, v7, s8
	v_mov_b32_e32 v3, 0x432a0000
	s_and_b32 s8, s9, 0xffff
	s_delay_alu instid0(SALU_CYCLE_1) | instskip(NEXT) | instid1(VALU_DEP_3)
	v_mad_u64_u32 v[5:6], null, s15, s8, v[0:1]
	v_and_b32_e32 v4, 1, v4
	v_mov_b32_e32 v6, 0
	s_delay_alu instid0(VALU_DEP_2)
	v_cmp_eq_u32_e32 vcc_lo, 1, v4
	v_mov_b32_e32 v4, 0xaa
	s_and_saveexec_b32 s8, vcc_lo
	s_cbranch_execz .LBB31_2
; %bb.1:
	v_lshlrev_b64 v[0:1], 2, v[5:6]
	s_load_b32 s0, s[0:1], 0x18
	s_delay_alu instid0(VALU_DEP_1) | instskip(NEXT) | instid1(VALU_DEP_2)
	v_add_co_u32 v0, vcc_lo, s2, v0
	v_add_co_ci_u32_e32 v1, vcc_lo, s3, v1, vcc_lo
	global_load_b32 v6, v[0:1], off
	v_mad_u64_u32 v[0:1], null, v5, 24, s[6:7]
	s_clause 0x1
	global_load_b32 v8, v[0:1], off
	global_load_b128 v[1:4], v[0:1], off offset:8
	s_waitcnt lgkmcnt(0)
	s_sub_i32 s1, 0, s0
	s_add_i32 s0, s0, -1
	v_and_b32_e32 v0, s1, v7
	s_waitcnt vmcnt(2)
	v_and_b32_e32 v6, s0, v6
	s_delay_alu instid0(VALU_DEP_1)
	v_add_lshl_u32 v0, v0, v6, 2
	s_waitcnt vmcnt(1)
	ds_permute_b32 v8, v0, v8
	s_waitcnt vmcnt(0)
	ds_permute_b32 v1, v0, v1
	ds_permute_b32 v2, v0, v2
	;; [unrolled: 1-line block ×4, first 2 shown]
.LBB31_2:
	s_or_b32 exec_lo, exec_lo, s8
	v_mad_u64_u32 v[6:7], null, v5, 24, s[4:5]
	s_waitcnt lgkmcnt(4)
	global_store_b16 v[6:7], v8, off
	s_waitcnt lgkmcnt(0)
	global_store_b128 v[6:7], v[1:4], off offset:8
	s_nop 0
	s_sendmsg sendmsg(MSG_DEALLOC_VGPRS)
	s_endpgm
	.section	.rodata,"a",@progbits
	.p2align	6, 0x0
	.amdhsa_kernel _Z19warp_permute_kernelI17custom_notalignedEvPT_PKS1_PKjjm
		.amdhsa_group_segment_fixed_size 0
		.amdhsa_private_segment_fixed_size 0
		.amdhsa_kernarg_size 296
		.amdhsa_user_sgpr_count 15
		.amdhsa_user_sgpr_dispatch_ptr 0
		.amdhsa_user_sgpr_queue_ptr 0
		.amdhsa_user_sgpr_kernarg_segment_ptr 1
		.amdhsa_user_sgpr_dispatch_id 0
		.amdhsa_user_sgpr_private_segment_size 0
		.amdhsa_wavefront_size32 1
		.amdhsa_uses_dynamic_stack 0
		.amdhsa_enable_private_segment 0
		.amdhsa_system_sgpr_workgroup_id_x 1
		.amdhsa_system_sgpr_workgroup_id_y 0
		.amdhsa_system_sgpr_workgroup_id_z 0
		.amdhsa_system_sgpr_workgroup_info 0
		.amdhsa_system_vgpr_workitem_id 0
		.amdhsa_next_free_vgpr 9
		.amdhsa_next_free_sgpr 16
		.amdhsa_reserve_vcc 1
		.amdhsa_float_round_mode_32 0
		.amdhsa_float_round_mode_16_64 0
		.amdhsa_float_denorm_mode_32 3
		.amdhsa_float_denorm_mode_16_64 3
		.amdhsa_dx10_clamp 1
		.amdhsa_ieee_mode 1
		.amdhsa_fp16_overflow 0
		.amdhsa_workgroup_processor_mode 1
		.amdhsa_memory_ordered 1
		.amdhsa_forward_progress 0
		.amdhsa_shared_vgpr_count 0
		.amdhsa_exception_fp_ieee_invalid_op 0
		.amdhsa_exception_fp_denorm_src 0
		.amdhsa_exception_fp_ieee_div_zero 0
		.amdhsa_exception_fp_ieee_overflow 0
		.amdhsa_exception_fp_ieee_underflow 0
		.amdhsa_exception_fp_ieee_inexact 0
		.amdhsa_exception_int_div_zero 0
	.end_amdhsa_kernel
	.section	.text._Z19warp_permute_kernelI17custom_notalignedEvPT_PKS1_PKjjm,"axG",@progbits,_Z19warp_permute_kernelI17custom_notalignedEvPT_PKS1_PKjjm,comdat
.Lfunc_end31:
	.size	_Z19warp_permute_kernelI17custom_notalignedEvPT_PKS1_PKjjm, .Lfunc_end31-_Z19warp_permute_kernelI17custom_notalignedEvPT_PKS1_PKjjm
                                        ; -- End function
	.section	.AMDGPU.csdata,"",@progbits
; Kernel info:
; codeLenInByte = 340
; NumSgprs: 18
; NumVgprs: 9
; ScratchSize: 0
; MemoryBound: 0
; FloatMode: 240
; IeeeMode: 1
; LDSByteSize: 0 bytes/workgroup (compile time only)
; SGPRBlocks: 2
; VGPRBlocks: 1
; NumSGPRsForWavesPerEU: 18
; NumVGPRsForWavesPerEU: 9
; Occupancy: 16
; WaveLimiterHint : 0
; COMPUTE_PGM_RSRC2:SCRATCH_EN: 0
; COMPUTE_PGM_RSRC2:USER_SGPR: 15
; COMPUTE_PGM_RSRC2:TRAP_HANDLER: 0
; COMPUTE_PGM_RSRC2:TGID_X_EN: 1
; COMPUTE_PGM_RSRC2:TGID_Y_EN: 0
; COMPUTE_PGM_RSRC2:TGID_Z_EN: 0
; COMPUTE_PGM_RSRC2:TIDIG_COMP_CNT: 0
	.section	.text._Z19warp_permute_kernelIhEvPT_PKS0_PKjjm,"axG",@progbits,_Z19warp_permute_kernelIhEvPT_PKS0_PKjjm,comdat
	.protected	_Z19warp_permute_kernelIhEvPT_PKS0_PKjjm ; -- Begin function _Z19warp_permute_kernelIhEvPT_PKS0_PKjjm
	.globl	_Z19warp_permute_kernelIhEvPT_PKS0_PKjjm
	.p2align	8
	.type	_Z19warp_permute_kernelIhEvPT_PKS0_PKjjm,@function
_Z19warp_permute_kernelIhEvPT_PKS0_PKjjm: ; @_Z19warp_permute_kernelIhEvPT_PKS0_PKjjm
; %bb.0:
	s_clause 0x3
	s_load_b32 s8, s[0:1], 0x20
	s_load_b32 s9, s[0:1], 0x34
	s_load_b128 s[4:7], s[0:1], 0x0
	s_load_b64 s[2:3], s[0:1], 0x10
	v_mbcnt_lo_u32_b32 v3, -1, 0
	s_waitcnt lgkmcnt(0)
	s_delay_alu instid0(VALU_DEP_1) | instskip(SKIP_1) | instid1(VALU_DEP_1)
	v_lshrrev_b32_e64 v1, v3, s8
	s_and_b32 s8, s9, 0xffff
	v_and_b32_e32 v4, 1, v1
	v_mad_u64_u32 v[1:2], null, s15, s8, v[0:1]
	v_mov_b32_e32 v2, 0
	v_mov_b32_e32 v0, 0xaa
	s_mov_b32 s8, exec_lo
	v_cmpx_eq_u32_e32 1, v4
	s_cbranch_execz .LBB32_2
; %bb.1:
	s_delay_alu instid0(VALU_DEP_4) | instskip(SKIP_1) | instid1(VALU_DEP_1)
	v_lshlrev_b64 v[4:5], 2, v[1:2]
	s_load_b32 s0, s[0:1], 0x18
	v_add_co_u32 v4, vcc_lo, s2, v4
	s_delay_alu instid0(VALU_DEP_2) | instskip(SKIP_2) | instid1(VALU_DEP_1)
	v_add_co_ci_u32_e32 v5, vcc_lo, s3, v5, vcc_lo
	global_load_b32 v0, v[4:5], off
	v_add_co_u32 v4, s2, s6, v1
	v_add_co_ci_u32_e64 v5, null, s7, 0, s2
	global_load_u8 v2, v[4:5], off
	s_waitcnt lgkmcnt(0)
	s_sub_i32 s1, 0, s0
	s_add_i32 s0, s0, -1
	v_and_b32_e32 v3, s1, v3
	s_waitcnt vmcnt(1)
	v_and_b32_e32 v0, s0, v0
	s_delay_alu instid0(VALU_DEP_1)
	v_add_lshl_u32 v0, v0, v3, 2
	s_waitcnt vmcnt(0)
	ds_permute_b32 v0, v0, v2
.LBB32_2:
	s_or_b32 exec_lo, exec_lo, s8
	s_delay_alu instid0(VALU_DEP_4) | instskip(NEXT) | instid1(VALU_DEP_1)
	v_add_co_u32 v1, s0, s4, v1
	v_add_co_ci_u32_e64 v2, null, s5, 0, s0
	s_waitcnt lgkmcnt(0)
	global_store_b8 v[1:2], v0, off
	s_nop 0
	s_sendmsg sendmsg(MSG_DEALLOC_VGPRS)
	s_endpgm
	.section	.rodata,"a",@progbits
	.p2align	6, 0x0
	.amdhsa_kernel _Z19warp_permute_kernelIhEvPT_PKS0_PKjjm
		.amdhsa_group_segment_fixed_size 0
		.amdhsa_private_segment_fixed_size 0
		.amdhsa_kernarg_size 296
		.amdhsa_user_sgpr_count 15
		.amdhsa_user_sgpr_dispatch_ptr 0
		.amdhsa_user_sgpr_queue_ptr 0
		.amdhsa_user_sgpr_kernarg_segment_ptr 1
		.amdhsa_user_sgpr_dispatch_id 0
		.amdhsa_user_sgpr_private_segment_size 0
		.amdhsa_wavefront_size32 1
		.amdhsa_uses_dynamic_stack 0
		.amdhsa_enable_private_segment 0
		.amdhsa_system_sgpr_workgroup_id_x 1
		.amdhsa_system_sgpr_workgroup_id_y 0
		.amdhsa_system_sgpr_workgroup_id_z 0
		.amdhsa_system_sgpr_workgroup_info 0
		.amdhsa_system_vgpr_workitem_id 0
		.amdhsa_next_free_vgpr 6
		.amdhsa_next_free_sgpr 16
		.amdhsa_reserve_vcc 1
		.amdhsa_float_round_mode_32 0
		.amdhsa_float_round_mode_16_64 0
		.amdhsa_float_denorm_mode_32 3
		.amdhsa_float_denorm_mode_16_64 3
		.amdhsa_dx10_clamp 1
		.amdhsa_ieee_mode 1
		.amdhsa_fp16_overflow 0
		.amdhsa_workgroup_processor_mode 1
		.amdhsa_memory_ordered 1
		.amdhsa_forward_progress 0
		.amdhsa_shared_vgpr_count 0
		.amdhsa_exception_fp_ieee_invalid_op 0
		.amdhsa_exception_fp_denorm_src 0
		.amdhsa_exception_fp_ieee_div_zero 0
		.amdhsa_exception_fp_ieee_overflow 0
		.amdhsa_exception_fp_ieee_underflow 0
		.amdhsa_exception_fp_ieee_inexact 0
		.amdhsa_exception_int_div_zero 0
	.end_amdhsa_kernel
	.section	.text._Z19warp_permute_kernelIhEvPT_PKS0_PKjjm,"axG",@progbits,_Z19warp_permute_kernelIhEvPT_PKS0_PKjjm,comdat
.Lfunc_end32:
	.size	_Z19warp_permute_kernelIhEvPT_PKS0_PKjjm, .Lfunc_end32-_Z19warp_permute_kernelIhEvPT_PKS0_PKjjm
                                        ; -- End function
	.section	.AMDGPU.csdata,"",@progbits
; Kernel info:
; codeLenInByte = 268
; NumSgprs: 18
; NumVgprs: 6
; ScratchSize: 0
; MemoryBound: 0
; FloatMode: 240
; IeeeMode: 1
; LDSByteSize: 0 bytes/workgroup (compile time only)
; SGPRBlocks: 2
; VGPRBlocks: 0
; NumSGPRsForWavesPerEU: 18
; NumVGPRsForWavesPerEU: 6
; Occupancy: 16
; WaveLimiterHint : 0
; COMPUTE_PGM_RSRC2:SCRATCH_EN: 0
; COMPUTE_PGM_RSRC2:USER_SGPR: 15
; COMPUTE_PGM_RSRC2:TRAP_HANDLER: 0
; COMPUTE_PGM_RSRC2:TGID_X_EN: 1
; COMPUTE_PGM_RSRC2:TGID_Y_EN: 0
; COMPUTE_PGM_RSRC2:TGID_Z_EN: 0
; COMPUTE_PGM_RSRC2:TIDIG_COMP_CNT: 0
	.section	.text._Z19warp_permute_kernelIdEvPT_PKS0_PKjjm,"axG",@progbits,_Z19warp_permute_kernelIdEvPT_PKS0_PKjjm,comdat
	.protected	_Z19warp_permute_kernelIdEvPT_PKS0_PKjjm ; -- Begin function _Z19warp_permute_kernelIdEvPT_PKS0_PKjjm
	.globl	_Z19warp_permute_kernelIdEvPT_PKS0_PKjjm
	.p2align	8
	.type	_Z19warp_permute_kernelIdEvPT_PKS0_PKjjm,@function
_Z19warp_permute_kernelIdEvPT_PKS0_PKjjm: ; @_Z19warp_permute_kernelIdEvPT_PKS0_PKjjm
; %bb.0:
	s_clause 0x1
	s_load_b32 s8, s[0:1], 0x20
	s_load_b32 s9, s[0:1], 0x34
	v_mbcnt_lo_u32_b32 v6, -1, 0
	s_clause 0x1
	s_load_b128 s[4:7], s[0:1], 0x0
	s_load_b64 s[2:3], s[0:1], 0x10
	s_waitcnt lgkmcnt(0)
	v_lshrrev_b32_e64 v1, v6, s8
	s_and_b32 s8, s9, 0xffff
	s_delay_alu instid0(VALU_DEP_1) | instid1(SALU_CYCLE_1)
	v_mad_u64_u32 v[2:3], null, s15, s8, v[0:1]
	v_dual_mov_b32 v3, 0 :: v_dual_and_b32 v0, 1, v1
	s_mov_b32 s8, 0
	s_mov_b32 s9, 0x40654000
	s_delay_alu instid0(SALU_CYCLE_1) | instskip(NEXT) | instid1(VALU_DEP_2)
	v_dual_mov_b32 v4, s8 :: v_dual_mov_b32 v5, s9
	v_cmp_eq_u32_e32 vcc_lo, 1, v0
	s_delay_alu instid0(VALU_DEP_4)
	v_lshlrev_b64 v[0:1], 3, v[2:3]
	s_and_saveexec_b32 s8, vcc_lo
	s_cbranch_execz .LBB33_2
; %bb.1:
	v_lshlrev_b64 v[2:3], 2, v[2:3]
	s_load_b32 s0, s[0:1], 0x18
	s_delay_alu instid0(VALU_DEP_1) | instskip(NEXT) | instid1(VALU_DEP_2)
	v_add_co_u32 v2, vcc_lo, s2, v2
	v_add_co_ci_u32_e32 v3, vcc_lo, s3, v3, vcc_lo
	global_load_b32 v4, v[2:3], off
	v_add_co_u32 v2, vcc_lo, s6, v0
	v_add_co_ci_u32_e32 v3, vcc_lo, s7, v1, vcc_lo
	global_load_b64 v[2:3], v[2:3], off
	s_waitcnt lgkmcnt(0)
	s_sub_i32 s1, 0, s0
	s_add_i32 s0, s0, -1
	v_and_b32_e32 v5, s1, v6
	s_waitcnt vmcnt(1)
	v_and_b32_e32 v4, s0, v4
	s_delay_alu instid0(VALU_DEP_1)
	v_add_lshl_u32 v5, v4, v5, 2
	s_waitcnt vmcnt(0)
	ds_permute_b32 v4, v5, v2
	ds_permute_b32 v5, v5, v3
.LBB33_2:
	s_or_b32 exec_lo, exec_lo, s8
	s_delay_alu instid0(VALU_DEP_1) | instskip(NEXT) | instid1(VALU_DEP_2)
	v_add_co_u32 v0, vcc_lo, s4, v0
	v_add_co_ci_u32_e32 v1, vcc_lo, s5, v1, vcc_lo
	s_waitcnt lgkmcnt(0)
	global_store_b64 v[0:1], v[4:5], off
	s_nop 0
	s_sendmsg sendmsg(MSG_DEALLOC_VGPRS)
	s_endpgm
	.section	.rodata,"a",@progbits
	.p2align	6, 0x0
	.amdhsa_kernel _Z19warp_permute_kernelIdEvPT_PKS0_PKjjm
		.amdhsa_group_segment_fixed_size 0
		.amdhsa_private_segment_fixed_size 0
		.amdhsa_kernarg_size 296
		.amdhsa_user_sgpr_count 15
		.amdhsa_user_sgpr_dispatch_ptr 0
		.amdhsa_user_sgpr_queue_ptr 0
		.amdhsa_user_sgpr_kernarg_segment_ptr 1
		.amdhsa_user_sgpr_dispatch_id 0
		.amdhsa_user_sgpr_private_segment_size 0
		.amdhsa_wavefront_size32 1
		.amdhsa_uses_dynamic_stack 0
		.amdhsa_enable_private_segment 0
		.amdhsa_system_sgpr_workgroup_id_x 1
		.amdhsa_system_sgpr_workgroup_id_y 0
		.amdhsa_system_sgpr_workgroup_id_z 0
		.amdhsa_system_sgpr_workgroup_info 0
		.amdhsa_system_vgpr_workitem_id 0
		.amdhsa_next_free_vgpr 7
		.amdhsa_next_free_sgpr 16
		.amdhsa_reserve_vcc 1
		.amdhsa_float_round_mode_32 0
		.amdhsa_float_round_mode_16_64 0
		.amdhsa_float_denorm_mode_32 3
		.amdhsa_float_denorm_mode_16_64 3
		.amdhsa_dx10_clamp 1
		.amdhsa_ieee_mode 1
		.amdhsa_fp16_overflow 0
		.amdhsa_workgroup_processor_mode 1
		.amdhsa_memory_ordered 1
		.amdhsa_forward_progress 0
		.amdhsa_shared_vgpr_count 0
		.amdhsa_exception_fp_ieee_invalid_op 0
		.amdhsa_exception_fp_denorm_src 0
		.amdhsa_exception_fp_ieee_div_zero 0
		.amdhsa_exception_fp_ieee_overflow 0
		.amdhsa_exception_fp_ieee_underflow 0
		.amdhsa_exception_fp_ieee_inexact 0
		.amdhsa_exception_int_div_zero 0
	.end_amdhsa_kernel
	.section	.text._Z19warp_permute_kernelIdEvPT_PKS0_PKjjm,"axG",@progbits,_Z19warp_permute_kernelIdEvPT_PKS0_PKjjm,comdat
.Lfunc_end33:
	.size	_Z19warp_permute_kernelIdEvPT_PKS0_PKjjm, .Lfunc_end33-_Z19warp_permute_kernelIdEvPT_PKS0_PKjjm
                                        ; -- End function
	.section	.AMDGPU.csdata,"",@progbits
; Kernel info:
; codeLenInByte = 296
; NumSgprs: 18
; NumVgprs: 7
; ScratchSize: 0
; MemoryBound: 0
; FloatMode: 240
; IeeeMode: 1
; LDSByteSize: 0 bytes/workgroup (compile time only)
; SGPRBlocks: 2
; VGPRBlocks: 0
; NumSGPRsForWavesPerEU: 18
; NumVGPRsForWavesPerEU: 7
; Occupancy: 16
; WaveLimiterHint : 0
; COMPUTE_PGM_RSRC2:SCRATCH_EN: 0
; COMPUTE_PGM_RSRC2:USER_SGPR: 15
; COMPUTE_PGM_RSRC2:TRAP_HANDLER: 0
; COMPUTE_PGM_RSRC2:TGID_X_EN: 1
; COMPUTE_PGM_RSRC2:TGID_Y_EN: 0
; COMPUTE_PGM_RSRC2:TGID_Z_EN: 0
; COMPUTE_PGM_RSRC2:TIDIG_COMP_CNT: 0
	.section	.text._Z19warp_permute_kernelIfEvPT_PKS0_PKjjm,"axG",@progbits,_Z19warp_permute_kernelIfEvPT_PKS0_PKjjm,comdat
	.protected	_Z19warp_permute_kernelIfEvPT_PKS0_PKjjm ; -- Begin function _Z19warp_permute_kernelIfEvPT_PKS0_PKjjm
	.globl	_Z19warp_permute_kernelIfEvPT_PKS0_PKjjm
	.p2align	8
	.type	_Z19warp_permute_kernelIfEvPT_PKS0_PKjjm,@function
_Z19warp_permute_kernelIfEvPT_PKS0_PKjjm: ; @_Z19warp_permute_kernelIfEvPT_PKS0_PKjjm
; %bb.0:
	s_clause 0x1
	s_load_b32 s8, s[0:1], 0x20
	s_load_b32 s9, s[0:1], 0x34
	v_mbcnt_lo_u32_b32 v2, -1, 0
	s_clause 0x1
	s_load_b128 s[4:7], s[0:1], 0x0
	s_load_b64 s[2:3], s[0:1], 0x10
	s_waitcnt lgkmcnt(0)
	v_lshrrev_b32_e64 v1, v2, s8
	s_and_b32 s8, s9, 0xffff
	s_delay_alu instid0(VALU_DEP_1) | instid1(SALU_CYCLE_1)
	v_mad_u64_u32 v[3:4], null, s15, s8, v[0:1]
	v_and_b32_e32 v0, 1, v1
	v_mov_b32_e32 v4, 0
	s_delay_alu instid0(VALU_DEP_2) | instskip(NEXT) | instid1(VALU_DEP_2)
	v_cmp_eq_u32_e32 vcc_lo, 1, v0
	v_lshlrev_b64 v[0:1], 2, v[3:4]
	v_mov_b32_e32 v3, 0x432a0000
	s_and_saveexec_b32 s8, vcc_lo
	s_cbranch_execz .LBB34_2
; %bb.1:
	s_delay_alu instid0(VALU_DEP_2) | instskip(NEXT) | instid1(VALU_DEP_3)
	v_add_co_u32 v3, vcc_lo, s2, v0
	v_add_co_ci_u32_e32 v4, vcc_lo, s3, v1, vcc_lo
	s_load_b32 s0, s[0:1], 0x18
	global_load_b32 v5, v[3:4], off
	v_add_co_u32 v3, vcc_lo, s6, v0
	v_add_co_ci_u32_e32 v4, vcc_lo, s7, v1, vcc_lo
	global_load_b32 v3, v[3:4], off
	s_waitcnt lgkmcnt(0)
	s_sub_i32 s1, 0, s0
	s_add_i32 s0, s0, -1
	v_and_b32_e32 v2, s1, v2
	s_waitcnt vmcnt(1)
	v_and_b32_e32 v4, s0, v5
	s_delay_alu instid0(VALU_DEP_1)
	v_add_lshl_u32 v2, v4, v2, 2
	s_waitcnt vmcnt(0)
	ds_permute_b32 v3, v2, v3
.LBB34_2:
	s_or_b32 exec_lo, exec_lo, s8
	s_delay_alu instid0(VALU_DEP_2)
	v_add_co_u32 v0, vcc_lo, s4, v0
	v_add_co_ci_u32_e32 v1, vcc_lo, s5, v1, vcc_lo
	s_waitcnt lgkmcnt(0)
	global_store_b32 v[0:1], v3, off
	s_nop 0
	s_sendmsg sendmsg(MSG_DEALLOC_VGPRS)
	s_endpgm
	.section	.rodata,"a",@progbits
	.p2align	6, 0x0
	.amdhsa_kernel _Z19warp_permute_kernelIfEvPT_PKS0_PKjjm
		.amdhsa_group_segment_fixed_size 0
		.amdhsa_private_segment_fixed_size 0
		.amdhsa_kernarg_size 296
		.amdhsa_user_sgpr_count 15
		.amdhsa_user_sgpr_dispatch_ptr 0
		.amdhsa_user_sgpr_queue_ptr 0
		.amdhsa_user_sgpr_kernarg_segment_ptr 1
		.amdhsa_user_sgpr_dispatch_id 0
		.amdhsa_user_sgpr_private_segment_size 0
		.amdhsa_wavefront_size32 1
		.amdhsa_uses_dynamic_stack 0
		.amdhsa_enable_private_segment 0
		.amdhsa_system_sgpr_workgroup_id_x 1
		.amdhsa_system_sgpr_workgroup_id_y 0
		.amdhsa_system_sgpr_workgroup_id_z 0
		.amdhsa_system_sgpr_workgroup_info 0
		.amdhsa_system_vgpr_workitem_id 0
		.amdhsa_next_free_vgpr 6
		.amdhsa_next_free_sgpr 16
		.amdhsa_reserve_vcc 1
		.amdhsa_float_round_mode_32 0
		.amdhsa_float_round_mode_16_64 0
		.amdhsa_float_denorm_mode_32 3
		.amdhsa_float_denorm_mode_16_64 3
		.amdhsa_dx10_clamp 1
		.amdhsa_ieee_mode 1
		.amdhsa_fp16_overflow 0
		.amdhsa_workgroup_processor_mode 1
		.amdhsa_memory_ordered 1
		.amdhsa_forward_progress 0
		.amdhsa_shared_vgpr_count 0
		.amdhsa_exception_fp_ieee_invalid_op 0
		.amdhsa_exception_fp_denorm_src 0
		.amdhsa_exception_fp_ieee_div_zero 0
		.amdhsa_exception_fp_ieee_overflow 0
		.amdhsa_exception_fp_ieee_underflow 0
		.amdhsa_exception_fp_ieee_inexact 0
		.amdhsa_exception_int_div_zero 0
	.end_amdhsa_kernel
	.section	.text._Z19warp_permute_kernelIfEvPT_PKS0_PKjjm,"axG",@progbits,_Z19warp_permute_kernelIfEvPT_PKS0_PKjjm,comdat
.Lfunc_end34:
	.size	_Z19warp_permute_kernelIfEvPT_PKS0_PKjjm, .Lfunc_end34-_Z19warp_permute_kernelIfEvPT_PKS0_PKjjm
                                        ; -- End function
	.section	.AMDGPU.csdata,"",@progbits
; Kernel info:
; codeLenInByte = 264
; NumSgprs: 18
; NumVgprs: 6
; ScratchSize: 0
; MemoryBound: 0
; FloatMode: 240
; IeeeMode: 1
; LDSByteSize: 0 bytes/workgroup (compile time only)
; SGPRBlocks: 2
; VGPRBlocks: 0
; NumSGPRsForWavesPerEU: 18
; NumVGPRsForWavesPerEU: 6
; Occupancy: 16
; WaveLimiterHint : 0
; COMPUTE_PGM_RSRC2:SCRATCH_EN: 0
; COMPUTE_PGM_RSRC2:USER_SGPR: 15
; COMPUTE_PGM_RSRC2:TRAP_HANDLER: 0
; COMPUTE_PGM_RSRC2:TGID_X_EN: 1
; COMPUTE_PGM_RSRC2:TGID_Y_EN: 0
; COMPUTE_PGM_RSRC2:TGID_Z_EN: 0
; COMPUTE_PGM_RSRC2:TIDIG_COMP_CNT: 0
	.section	.text._Z19warp_permute_kernelIiEvPT_PKS0_PKjjm,"axG",@progbits,_Z19warp_permute_kernelIiEvPT_PKS0_PKjjm,comdat
	.protected	_Z19warp_permute_kernelIiEvPT_PKS0_PKjjm ; -- Begin function _Z19warp_permute_kernelIiEvPT_PKS0_PKjjm
	.globl	_Z19warp_permute_kernelIiEvPT_PKS0_PKjjm
	.p2align	8
	.type	_Z19warp_permute_kernelIiEvPT_PKS0_PKjjm,@function
_Z19warp_permute_kernelIiEvPT_PKS0_PKjjm: ; @_Z19warp_permute_kernelIiEvPT_PKS0_PKjjm
; %bb.0:
	s_clause 0x1
	s_load_b32 s8, s[0:1], 0x20
	s_load_b32 s9, s[0:1], 0x34
	v_mbcnt_lo_u32_b32 v2, -1, 0
	s_clause 0x1
	s_load_b128 s[4:7], s[0:1], 0x0
	s_load_b64 s[2:3], s[0:1], 0x10
	s_waitcnt lgkmcnt(0)
	v_lshrrev_b32_e64 v1, v2, s8
	s_and_b32 s8, s9, 0xffff
	s_delay_alu instid0(VALU_DEP_1) | instid1(SALU_CYCLE_1)
	v_mad_u64_u32 v[3:4], null, s15, s8, v[0:1]
	v_and_b32_e32 v0, 1, v1
	v_mov_b32_e32 v4, 0
	s_delay_alu instid0(VALU_DEP_2) | instskip(NEXT) | instid1(VALU_DEP_2)
	v_cmp_eq_u32_e32 vcc_lo, 1, v0
	v_lshlrev_b64 v[0:1], 2, v[3:4]
	v_mov_b32_e32 v3, 0xaa
	s_and_saveexec_b32 s8, vcc_lo
	s_cbranch_execz .LBB35_2
; %bb.1:
	s_delay_alu instid0(VALU_DEP_2) | instskip(NEXT) | instid1(VALU_DEP_3)
	v_add_co_u32 v3, vcc_lo, s2, v0
	v_add_co_ci_u32_e32 v4, vcc_lo, s3, v1, vcc_lo
	s_load_b32 s0, s[0:1], 0x18
	global_load_b32 v5, v[3:4], off
	v_add_co_u32 v3, vcc_lo, s6, v0
	v_add_co_ci_u32_e32 v4, vcc_lo, s7, v1, vcc_lo
	global_load_b32 v3, v[3:4], off
	s_waitcnt lgkmcnt(0)
	s_sub_i32 s1, 0, s0
	s_add_i32 s0, s0, -1
	v_and_b32_e32 v2, s1, v2
	s_waitcnt vmcnt(1)
	v_and_b32_e32 v4, s0, v5
	s_delay_alu instid0(VALU_DEP_1)
	v_add_lshl_u32 v2, v4, v2, 2
	s_waitcnt vmcnt(0)
	ds_permute_b32 v3, v2, v3
.LBB35_2:
	s_or_b32 exec_lo, exec_lo, s8
	s_delay_alu instid0(VALU_DEP_2)
	v_add_co_u32 v0, vcc_lo, s4, v0
	v_add_co_ci_u32_e32 v1, vcc_lo, s5, v1, vcc_lo
	s_waitcnt lgkmcnt(0)
	global_store_b32 v[0:1], v3, off
	s_nop 0
	s_sendmsg sendmsg(MSG_DEALLOC_VGPRS)
	s_endpgm
	.section	.rodata,"a",@progbits
	.p2align	6, 0x0
	.amdhsa_kernel _Z19warp_permute_kernelIiEvPT_PKS0_PKjjm
		.amdhsa_group_segment_fixed_size 0
		.amdhsa_private_segment_fixed_size 0
		.amdhsa_kernarg_size 296
		.amdhsa_user_sgpr_count 15
		.amdhsa_user_sgpr_dispatch_ptr 0
		.amdhsa_user_sgpr_queue_ptr 0
		.amdhsa_user_sgpr_kernarg_segment_ptr 1
		.amdhsa_user_sgpr_dispatch_id 0
		.amdhsa_user_sgpr_private_segment_size 0
		.amdhsa_wavefront_size32 1
		.amdhsa_uses_dynamic_stack 0
		.amdhsa_enable_private_segment 0
		.amdhsa_system_sgpr_workgroup_id_x 1
		.amdhsa_system_sgpr_workgroup_id_y 0
		.amdhsa_system_sgpr_workgroup_id_z 0
		.amdhsa_system_sgpr_workgroup_info 0
		.amdhsa_system_vgpr_workitem_id 0
		.amdhsa_next_free_vgpr 6
		.amdhsa_next_free_sgpr 16
		.amdhsa_reserve_vcc 1
		.amdhsa_float_round_mode_32 0
		.amdhsa_float_round_mode_16_64 0
		.amdhsa_float_denorm_mode_32 3
		.amdhsa_float_denorm_mode_16_64 3
		.amdhsa_dx10_clamp 1
		.amdhsa_ieee_mode 1
		.amdhsa_fp16_overflow 0
		.amdhsa_workgroup_processor_mode 1
		.amdhsa_memory_ordered 1
		.amdhsa_forward_progress 0
		.amdhsa_shared_vgpr_count 0
		.amdhsa_exception_fp_ieee_invalid_op 0
		.amdhsa_exception_fp_denorm_src 0
		.amdhsa_exception_fp_ieee_div_zero 0
		.amdhsa_exception_fp_ieee_overflow 0
		.amdhsa_exception_fp_ieee_underflow 0
		.amdhsa_exception_fp_ieee_inexact 0
		.amdhsa_exception_int_div_zero 0
	.end_amdhsa_kernel
	.section	.text._Z19warp_permute_kernelIiEvPT_PKS0_PKjjm,"axG",@progbits,_Z19warp_permute_kernelIiEvPT_PKS0_PKjjm,comdat
.Lfunc_end35:
	.size	_Z19warp_permute_kernelIiEvPT_PKS0_PKjjm, .Lfunc_end35-_Z19warp_permute_kernelIiEvPT_PKS0_PKjjm
                                        ; -- End function
	.section	.AMDGPU.csdata,"",@progbits
; Kernel info:
; codeLenInByte = 264
; NumSgprs: 18
; NumVgprs: 6
; ScratchSize: 0
; MemoryBound: 0
; FloatMode: 240
; IeeeMode: 1
; LDSByteSize: 0 bytes/workgroup (compile time only)
; SGPRBlocks: 2
; VGPRBlocks: 0
; NumSGPRsForWavesPerEU: 18
; NumVGPRsForWavesPerEU: 6
; Occupancy: 16
; WaveLimiterHint : 0
; COMPUTE_PGM_RSRC2:SCRATCH_EN: 0
; COMPUTE_PGM_RSRC2:USER_SGPR: 15
; COMPUTE_PGM_RSRC2:TRAP_HANDLER: 0
; COMPUTE_PGM_RSRC2:TGID_X_EN: 1
; COMPUTE_PGM_RSRC2:TGID_Y_EN: 0
; COMPUTE_PGM_RSRC2:TGID_Z_EN: 0
; COMPUTE_PGM_RSRC2:TIDIG_COMP_CNT: 0
	.section	.text._Z16match_any_kernelILj3EEvPmPKjmm,"axG",@progbits,_Z16match_any_kernelILj3EEvPmPKjmm,comdat
	.protected	_Z16match_any_kernelILj3EEvPmPKjmm ; -- Begin function _Z16match_any_kernelILj3EEvPmPKjmm
	.globl	_Z16match_any_kernelILj3EEvPmPKjmm
	.p2align	8
	.type	_Z16match_any_kernelILj3EEvPmPKjmm,@function
_Z16match_any_kernelILj3EEvPmPKjmm:     ; @_Z16match_any_kernelILj3EEvPmPKjmm
; %bb.0:
	s_clause 0x1
	s_load_b256 s[4:11], s[0:1], 0x0
	s_load_b32 s0, s[0:1], 0x2c
	v_mbcnt_lo_u32_b32 v1, -1, 0
	s_delay_alu instid0(VALU_DEP_1) | instskip(SKIP_1) | instid1(VALU_DEP_1)
	v_lshlrev_b64 v[3:4], v1, 1
	s_waitcnt lgkmcnt(0)
	v_and_b32_e32 v6, s9, v4
	s_delay_alu instid0(VALU_DEP_2) | instskip(SKIP_1) | instid1(SALU_CYCLE_1)
	v_and_b32_e32 v5, s8, v3
	s_and_b32 s0, s0, 0xffff
	v_mad_u64_u32 v[1:2], null, s15, s0, v[0:1]
	v_mov_b32_e32 v2, 0
	s_delay_alu instid0(VALU_DEP_3)
	v_cmp_ne_u64_e32 vcc_lo, 0, v[5:6]
	v_mov_b32_e32 v5, 0xaa
	v_mov_b32_e32 v6, 0
	s_and_saveexec_b32 s2, vcc_lo
	s_cbranch_execz .LBB36_2
; %bb.1:
	v_lshlrev_b64 v[5:6], 2, v[1:2]
	v_and_b32_e32 v4, s11, v4
	v_and_b32_e32 v3, s10, v3
	s_delay_alu instid0(VALU_DEP_3) | instskip(NEXT) | instid1(VALU_DEP_4)
	v_add_co_u32 v5, vcc_lo, s6, v5
	v_add_co_ci_u32_e32 v6, vcc_lo, s7, v6, vcc_lo
	s_delay_alu instid0(VALU_DEP_3)
	v_cmp_ne_u64_e64 s1, 0, v[3:4]
	global_load_b32 v0, v[5:6], off
	s_waitcnt vmcnt(0)
	v_and_b32_e32 v5, 1, v0
	v_lshlrev_b32_e32 v6, 30, v0
	v_lshlrev_b32_e32 v0, 29, v0
	s_delay_alu instid0(VALU_DEP_3) | instskip(NEXT) | instid1(VALU_DEP_1)
	v_add_co_u32 v5, s0, v5, -1
	v_cndmask_b32_e64 v7, 0, 1, s0
	s_delay_alu instid0(VALU_DEP_4) | instskip(SKIP_2) | instid1(VALU_DEP_4)
	v_not_b32_e32 v8, v6
	v_cmp_gt_i32_e64 s0, 0, v6
	v_not_b32_e32 v6, v0
	v_cmp_ne_u32_e32 vcc_lo, 0, v7
	s_delay_alu instid0(VALU_DEP_4)
	v_ashrrev_i32_e32 v7, 31, v8
	v_xor_b32_e32 v3, vcc_lo, v5
	v_cmp_gt_i32_e32 vcc_lo, 0, v0
	v_ashrrev_i32_e32 v0, 31, v6
	v_mov_b32_e32 v6, v2
	v_xor_b32_e32 v4, s0, v7
	v_and_b32_e32 v3, s1, v3
	s_delay_alu instid0(VALU_DEP_4) | instskip(NEXT) | instid1(VALU_DEP_2)
	v_xor_b32_e32 v0, vcc_lo, v0
	v_and_b32_e32 v3, v3, v4
	s_delay_alu instid0(VALU_DEP_1) | instskip(NEXT) | instid1(VALU_DEP_1)
	v_and_b32_e32 v0, v3, v0
	v_cndmask_b32_e64 v5, 0, v0, s1
.LBB36_2:
	s_or_b32 exec_lo, exec_lo, s2
	v_lshlrev_b64 v[0:1], 3, v[1:2]
	s_delay_alu instid0(VALU_DEP_1) | instskip(NEXT) | instid1(VALU_DEP_2)
	v_add_co_u32 v0, vcc_lo, s4, v0
	v_add_co_ci_u32_e32 v1, vcc_lo, s5, v1, vcc_lo
	global_store_b64 v[0:1], v[5:6], off
	s_nop 0
	s_sendmsg sendmsg(MSG_DEALLOC_VGPRS)
	s_endpgm
	.section	.rodata,"a",@progbits
	.p2align	6, 0x0
	.amdhsa_kernel _Z16match_any_kernelILj3EEvPmPKjmm
		.amdhsa_group_segment_fixed_size 0
		.amdhsa_private_segment_fixed_size 0
		.amdhsa_kernarg_size 288
		.amdhsa_user_sgpr_count 15
		.amdhsa_user_sgpr_dispatch_ptr 0
		.amdhsa_user_sgpr_queue_ptr 0
		.amdhsa_user_sgpr_kernarg_segment_ptr 1
		.amdhsa_user_sgpr_dispatch_id 0
		.amdhsa_user_sgpr_private_segment_size 0
		.amdhsa_wavefront_size32 1
		.amdhsa_uses_dynamic_stack 0
		.amdhsa_enable_private_segment 0
		.amdhsa_system_sgpr_workgroup_id_x 1
		.amdhsa_system_sgpr_workgroup_id_y 0
		.amdhsa_system_sgpr_workgroup_id_z 0
		.amdhsa_system_sgpr_workgroup_info 0
		.amdhsa_system_vgpr_workitem_id 0
		.amdhsa_next_free_vgpr 9
		.amdhsa_next_free_sgpr 16
		.amdhsa_reserve_vcc 1
		.amdhsa_float_round_mode_32 0
		.amdhsa_float_round_mode_16_64 0
		.amdhsa_float_denorm_mode_32 3
		.amdhsa_float_denorm_mode_16_64 3
		.amdhsa_dx10_clamp 1
		.amdhsa_ieee_mode 1
		.amdhsa_fp16_overflow 0
		.amdhsa_workgroup_processor_mode 1
		.amdhsa_memory_ordered 1
		.amdhsa_forward_progress 0
		.amdhsa_shared_vgpr_count 0
		.amdhsa_exception_fp_ieee_invalid_op 0
		.amdhsa_exception_fp_denorm_src 0
		.amdhsa_exception_fp_ieee_div_zero 0
		.amdhsa_exception_fp_ieee_overflow 0
		.amdhsa_exception_fp_ieee_underflow 0
		.amdhsa_exception_fp_ieee_inexact 0
		.amdhsa_exception_int_div_zero 0
	.end_amdhsa_kernel
	.section	.text._Z16match_any_kernelILj3EEvPmPKjmm,"axG",@progbits,_Z16match_any_kernelILj3EEvPmPKjmm,comdat
.Lfunc_end36:
	.size	_Z16match_any_kernelILj3EEvPmPKjmm, .Lfunc_end36-_Z16match_any_kernelILj3EEvPmPKjmm
                                        ; -- End function
	.section	.AMDGPU.csdata,"",@progbits
; Kernel info:
; codeLenInByte = 324
; NumSgprs: 18
; NumVgprs: 9
; ScratchSize: 0
; MemoryBound: 0
; FloatMode: 240
; IeeeMode: 1
; LDSByteSize: 0 bytes/workgroup (compile time only)
; SGPRBlocks: 2
; VGPRBlocks: 1
; NumSGPRsForWavesPerEU: 18
; NumVGPRsForWavesPerEU: 9
; Occupancy: 16
; WaveLimiterHint : 0
; COMPUTE_PGM_RSRC2:SCRATCH_EN: 0
; COMPUTE_PGM_RSRC2:USER_SGPR: 15
; COMPUTE_PGM_RSRC2:TRAP_HANDLER: 0
; COMPUTE_PGM_RSRC2:TGID_X_EN: 1
; COMPUTE_PGM_RSRC2:TGID_Y_EN: 0
; COMPUTE_PGM_RSRC2:TGID_Z_EN: 0
; COMPUTE_PGM_RSRC2:TIDIG_COMP_CNT: 0
	.text
	.p2alignl 7, 3214868480
	.fill 96, 4, 3214868480
	.type	__hip_cuid_ce03cdbaf5a3386c,@object ; @__hip_cuid_ce03cdbaf5a3386c
	.section	.bss,"aw",@nobits
	.globl	__hip_cuid_ce03cdbaf5a3386c
__hip_cuid_ce03cdbaf5a3386c:
	.byte	0                               ; 0x0
	.size	__hip_cuid_ce03cdbaf5a3386c, 1

	.ident	"AMD clang version 19.0.0git (https://github.com/RadeonOpenCompute/llvm-project roc-6.4.0 25133 c7fe45cf4b819c5991fe208aaa96edf142730f1d)"
	.section	".note.GNU-stack","",@progbits
	.addrsig
	.addrsig_sym __hip_cuid_ce03cdbaf5a3386c
	.amdgpu_metadata
---
amdhsa.kernels:
  - .args:
      - .address_space:  global
        .offset:         0
        .size:           8
        .value_kind:     global_buffer
      - .offset:         8
        .size:           4
        .value_kind:     hidden_block_count_x
      - .offset:         12
        .size:           4
        .value_kind:     hidden_block_count_y
      - .offset:         16
        .size:           4
        .value_kind:     hidden_block_count_z
      - .offset:         20
        .size:           2
        .value_kind:     hidden_group_size_x
      - .offset:         22
        .size:           2
        .value_kind:     hidden_group_size_y
      - .offset:         24
        .size:           2
        .value_kind:     hidden_group_size_z
      - .offset:         26
        .size:           2
        .value_kind:     hidden_remainder_x
      - .offset:         28
        .size:           2
        .value_kind:     hidden_remainder_y
      - .offset:         30
        .size:           2
        .value_kind:     hidden_remainder_z
      - .offset:         48
        .size:           8
        .value_kind:     hidden_global_offset_x
      - .offset:         56
        .size:           8
        .value_kind:     hidden_global_offset_y
      - .offset:         64
        .size:           8
        .value_kind:     hidden_global_offset_z
      - .offset:         72
        .size:           2
        .value_kind:     hidden_grid_dims
    .group_segment_fixed_size: 0
    .kernarg_segment_align: 8
    .kernarg_segment_size: 264
    .language:       OpenCL C
    .language_version:
      - 2
      - 0
    .max_flat_workgroup_size: 1024
    .name:           _Z14lane_id_kernelPj
    .private_segment_fixed_size: 0
    .sgpr_count:     18
    .sgpr_spill_count: 0
    .symbol:         _Z14lane_id_kernelPj.kd
    .uniform_work_group_size: 1
    .uses_dynamic_stack: false
    .vgpr_count:     3
    .vgpr_spill_count: 0
    .wavefront_size: 32
    .workgroup_processor_mode: 1
  - .args:
      - .address_space:  global
        .offset:         0
        .size:           8
        .value_kind:     global_buffer
      - .address_space:  global
        .offset:         8
        .size:           8
        .value_kind:     global_buffer
      - .offset:         16
        .size:           4
        .value_kind:     by_value
      - .offset:         24
        .size:           8
        .value_kind:     by_value
      - .offset:         32
        .size:           4
        .value_kind:     hidden_block_count_x
      - .offset:         36
        .size:           4
        .value_kind:     hidden_block_count_y
      - .offset:         40
        .size:           4
        .value_kind:     hidden_block_count_z
      - .offset:         44
        .size:           2
        .value_kind:     hidden_group_size_x
      - .offset:         46
        .size:           2
        .value_kind:     hidden_group_size_y
      - .offset:         48
        .size:           2
        .value_kind:     hidden_group_size_z
      - .offset:         50
        .size:           2
        .value_kind:     hidden_remainder_x
      - .offset:         52
        .size:           2
        .value_kind:     hidden_remainder_y
      - .offset:         54
        .size:           2
        .value_kind:     hidden_remainder_z
      - .offset:         72
        .size:           8
        .value_kind:     hidden_global_offset_x
      - .offset:         80
        .size:           8
        .value_kind:     hidden_global_offset_y
      - .offset:         88
        .size:           8
        .value_kind:     hidden_global_offset_z
      - .offset:         96
        .size:           2
        .value_kind:     hidden_grid_dims
    .group_segment_fixed_size: 0
    .kernarg_segment_align: 8
    .kernarg_segment_size: 288
    .language:       OpenCL C
    .language_version:
      - 2
      - 0
    .max_flat_workgroup_size: 1024
    .name:           _Z23masked_bit_count_kernelPjPKmjm
    .private_segment_fixed_size: 0
    .sgpr_count:     18
    .sgpr_spill_count: 0
    .symbol:         _Z23masked_bit_count_kernelPjPKmjm.kd
    .uniform_work_group_size: 1
    .uses_dynamic_stack: false
    .vgpr_count:     4
    .vgpr_spill_count: 0
    .wavefront_size: 32
    .workgroup_processor_mode: 1
  - .args:
      - .address_space:  global
        .offset:         0
        .size:           8
        .value_kind:     global_buffer
      - .address_space:  global
        .offset:         8
        .size:           8
        .value_kind:     global_buffer
      - .offset:         16
        .size:           8
        .value_kind:     by_value
      - .offset:         24
        .size:           4
        .value_kind:     hidden_block_count_x
      - .offset:         28
        .size:           4
        .value_kind:     hidden_block_count_y
      - .offset:         32
        .size:           4
        .value_kind:     hidden_block_count_z
      - .offset:         36
        .size:           2
        .value_kind:     hidden_group_size_x
      - .offset:         38
        .size:           2
        .value_kind:     hidden_group_size_y
      - .offset:         40
        .size:           2
        .value_kind:     hidden_group_size_z
      - .offset:         42
        .size:           2
        .value_kind:     hidden_remainder_x
      - .offset:         44
        .size:           2
        .value_kind:     hidden_remainder_y
      - .offset:         46
        .size:           2
        .value_kind:     hidden_remainder_z
      - .offset:         64
        .size:           8
        .value_kind:     hidden_global_offset_x
      - .offset:         72
        .size:           8
        .value_kind:     hidden_global_offset_y
      - .offset:         80
        .size:           8
        .value_kind:     hidden_global_offset_z
      - .offset:         88
        .size:           2
        .value_kind:     hidden_grid_dims
    .group_segment_fixed_size: 0
    .kernarg_segment_align: 8
    .kernarg_segment_size: 280
    .language:       OpenCL C
    .language_version:
      - 2
      - 0
    .max_flat_workgroup_size: 1024
    .name:           _Z13ballot_kernelPmPKjm
    .private_segment_fixed_size: 0
    .sgpr_count:     18
    .sgpr_spill_count: 0
    .symbol:         _Z13ballot_kernelPmPKjm.kd
    .uniform_work_group_size: 1
    .uses_dynamic_stack: false
    .vgpr_count:     6
    .vgpr_spill_count: 0
    .wavefront_size: 32
    .workgroup_processor_mode: 1
  - .args:
      - .address_space:  global
        .offset:         0
        .size:           8
        .value_kind:     global_buffer
      - .address_space:  global
        .offset:         8
        .size:           8
        .value_kind:     global_buffer
      - .offset:         16
        .size:           8
        .value_kind:     by_value
      - .offset:         24
        .size:           4
        .value_kind:     hidden_block_count_x
      - .offset:         28
        .size:           4
        .value_kind:     hidden_block_count_y
      - .offset:         32
        .size:           4
        .value_kind:     hidden_block_count_z
      - .offset:         36
        .size:           2
        .value_kind:     hidden_group_size_x
      - .offset:         38
        .size:           2
        .value_kind:     hidden_group_size_y
      - .offset:         40
        .size:           2
        .value_kind:     hidden_group_size_z
      - .offset:         42
        .size:           2
        .value_kind:     hidden_remainder_x
      - .offset:         44
        .size:           2
        .value_kind:     hidden_remainder_y
      - .offset:         46
        .size:           2
        .value_kind:     hidden_remainder_z
      - .offset:         64
        .size:           8
        .value_kind:     hidden_global_offset_x
      - .offset:         72
        .size:           8
        .value_kind:     hidden_global_offset_y
      - .offset:         80
        .size:           8
        .value_kind:     hidden_global_offset_z
      - .offset:         88
        .size:           2
        .value_kind:     hidden_grid_dims
    .group_segment_fixed_size: 0
    .kernarg_segment_align: 8
    .kernarg_segment_size: 280
    .language:       OpenCL C
    .language_version:
      - 2
      - 0
    .max_flat_workgroup_size: 1024
    .name:           _Z18group_elect_kernelPmS_m
    .private_segment_fixed_size: 0
    .sgpr_count:     18
    .sgpr_spill_count: 0
    .symbol:         _Z18group_elect_kernelPmS_m.kd
    .uniform_work_group_size: 1
    .uses_dynamic_stack: false
    .vgpr_count:     5
    .vgpr_spill_count: 0
    .wavefront_size: 32
    .workgroup_processor_mode: 1
  - .args:
      - .address_space:  global
        .offset:         0
        .size:           8
        .value_kind:     global_buffer
      - .offset:         8
        .size:           4
        .value_kind:     by_value
      - .offset:         12
        .size:           4
        .value_kind:     by_value
      - .offset:         16
        .size:           8
        .value_kind:     by_value
      - .offset:         24
        .size:           4
        .value_kind:     hidden_block_count_x
      - .offset:         28
        .size:           4
        .value_kind:     hidden_block_count_y
      - .offset:         32
        .size:           4
        .value_kind:     hidden_block_count_z
      - .offset:         36
        .size:           2
        .value_kind:     hidden_group_size_x
      - .offset:         38
        .size:           2
        .value_kind:     hidden_group_size_y
      - .offset:         40
        .size:           2
        .value_kind:     hidden_group_size_z
      - .offset:         42
        .size:           2
        .value_kind:     hidden_remainder_x
      - .offset:         44
        .size:           2
        .value_kind:     hidden_remainder_y
      - .offset:         46
        .size:           2
        .value_kind:     hidden_remainder_z
      - .offset:         64
        .size:           8
        .value_kind:     hidden_global_offset_x
      - .offset:         72
        .size:           8
        .value_kind:     hidden_global_offset_y
      - .offset:         80
        .size:           8
        .value_kind:     hidden_global_offset_z
      - .offset:         88
        .size:           2
        .value_kind:     hidden_grid_dims
    .group_segment_fixed_size: 0
    .kernarg_segment_align: 8
    .kernarg_segment_size: 280
    .language:       OpenCL C
    .language_version:
      - 2
      - 0
    .max_flat_workgroup_size: 1024
    .name:           _Z14shuffle_kernelIL17shuffle_test_type0E16custom_16alignedEvPT0_jjm
    .private_segment_fixed_size: 0
    .sgpr_count:     18
    .sgpr_spill_count: 0
    .symbol:         _Z14shuffle_kernelIL17shuffle_test_type0E16custom_16alignedEvPT0_jjm.kd
    .uniform_work_group_size: 1
    .uses_dynamic_stack: false
    .vgpr_count:     10
    .vgpr_spill_count: 0
    .wavefront_size: 32
    .workgroup_processor_mode: 1
  - .args:
      - .address_space:  global
        .offset:         0
        .size:           8
        .value_kind:     global_buffer
      - .offset:         8
        .size:           4
        .value_kind:     by_value
      - .offset:         12
        .size:           4
        .value_kind:     by_value
      - .offset:         16
        .size:           8
        .value_kind:     by_value
      - .offset:         24
        .size:           4
        .value_kind:     hidden_block_count_x
      - .offset:         28
        .size:           4
        .value_kind:     hidden_block_count_y
      - .offset:         32
        .size:           4
        .value_kind:     hidden_block_count_z
      - .offset:         36
        .size:           2
        .value_kind:     hidden_group_size_x
      - .offset:         38
        .size:           2
        .value_kind:     hidden_group_size_y
      - .offset:         40
        .size:           2
        .value_kind:     hidden_group_size_z
      - .offset:         42
        .size:           2
        .value_kind:     hidden_remainder_x
      - .offset:         44
        .size:           2
        .value_kind:     hidden_remainder_y
      - .offset:         46
        .size:           2
        .value_kind:     hidden_remainder_z
      - .offset:         64
        .size:           8
        .value_kind:     hidden_global_offset_x
      - .offset:         72
        .size:           8
        .value_kind:     hidden_global_offset_y
      - .offset:         80
        .size:           8
        .value_kind:     hidden_global_offset_z
      - .offset:         88
        .size:           2
        .value_kind:     hidden_grid_dims
    .group_segment_fixed_size: 0
    .kernarg_segment_align: 8
    .kernarg_segment_size: 280
    .language:       OpenCL C
    .language_version:
      - 2
      - 0
    .max_flat_workgroup_size: 1024
    .name:           _Z14shuffle_kernelIL17shuffle_test_type0E17custom_notalignedEvPT0_jjm
    .private_segment_fixed_size: 0
    .sgpr_count:     18
    .sgpr_spill_count: 0
    .symbol:         _Z14shuffle_kernelIL17shuffle_test_type0E17custom_notalignedEvPT0_jjm.kd
    .uniform_work_group_size: 1
    .uses_dynamic_stack: false
    .vgpr_count:     10
    .vgpr_spill_count: 0
    .wavefront_size: 32
    .workgroup_processor_mode: 1
  - .args:
      - .address_space:  global
        .offset:         0
        .size:           8
        .value_kind:     global_buffer
      - .offset:         8
        .size:           4
        .value_kind:     by_value
      - .offset:         12
        .size:           4
        .value_kind:     by_value
      - .offset:         16
        .size:           8
        .value_kind:     by_value
      - .offset:         24
        .size:           4
        .value_kind:     hidden_block_count_x
      - .offset:         28
        .size:           4
        .value_kind:     hidden_block_count_y
      - .offset:         32
        .size:           4
        .value_kind:     hidden_block_count_z
      - .offset:         36
        .size:           2
        .value_kind:     hidden_group_size_x
      - .offset:         38
        .size:           2
        .value_kind:     hidden_group_size_y
      - .offset:         40
        .size:           2
        .value_kind:     hidden_group_size_z
      - .offset:         42
        .size:           2
        .value_kind:     hidden_remainder_x
      - .offset:         44
        .size:           2
        .value_kind:     hidden_remainder_y
      - .offset:         46
        .size:           2
        .value_kind:     hidden_remainder_z
      - .offset:         64
        .size:           8
        .value_kind:     hidden_global_offset_x
      - .offset:         72
        .size:           8
        .value_kind:     hidden_global_offset_y
      - .offset:         80
        .size:           8
        .value_kind:     hidden_global_offset_z
      - .offset:         88
        .size:           2
        .value_kind:     hidden_grid_dims
    .group_segment_fixed_size: 0
    .kernarg_segment_align: 8
    .kernarg_segment_size: 280
    .language:       OpenCL C
    .language_version:
      - 2
      - 0
    .max_flat_workgroup_size: 1024
    .name:           _Z14shuffle_kernelIL17shuffle_test_type0EhEvPT0_jjm
    .private_segment_fixed_size: 0
    .sgpr_count:     18
    .sgpr_spill_count: 0
    .symbol:         _Z14shuffle_kernelIL17shuffle_test_type0EhEvPT0_jjm.kd
    .uniform_work_group_size: 1
    .uses_dynamic_stack: false
    .vgpr_count:     6
    .vgpr_spill_count: 0
    .wavefront_size: 32
    .workgroup_processor_mode: 1
  - .args:
      - .address_space:  global
        .offset:         0
        .size:           8
        .value_kind:     global_buffer
      - .offset:         8
        .size:           4
        .value_kind:     by_value
      - .offset:         12
        .size:           4
        .value_kind:     by_value
      - .offset:         16
        .size:           8
        .value_kind:     by_value
      - .offset:         24
        .size:           4
        .value_kind:     hidden_block_count_x
      - .offset:         28
        .size:           4
        .value_kind:     hidden_block_count_y
      - .offset:         32
        .size:           4
        .value_kind:     hidden_block_count_z
      - .offset:         36
        .size:           2
        .value_kind:     hidden_group_size_x
      - .offset:         38
        .size:           2
        .value_kind:     hidden_group_size_y
      - .offset:         40
        .size:           2
        .value_kind:     hidden_group_size_z
      - .offset:         42
        .size:           2
        .value_kind:     hidden_remainder_x
      - .offset:         44
        .size:           2
        .value_kind:     hidden_remainder_y
      - .offset:         46
        .size:           2
        .value_kind:     hidden_remainder_z
      - .offset:         64
        .size:           8
        .value_kind:     hidden_global_offset_x
      - .offset:         72
        .size:           8
        .value_kind:     hidden_global_offset_y
      - .offset:         80
        .size:           8
        .value_kind:     hidden_global_offset_z
      - .offset:         88
        .size:           2
        .value_kind:     hidden_grid_dims
    .group_segment_fixed_size: 0
    .kernarg_segment_align: 8
    .kernarg_segment_size: 280
    .language:       OpenCL C
    .language_version:
      - 2
      - 0
    .max_flat_workgroup_size: 1024
    .name:           _Z14shuffle_kernelIL17shuffle_test_type0EdEvPT0_jjm
    .private_segment_fixed_size: 0
    .sgpr_count:     18
    .sgpr_spill_count: 0
    .symbol:         _Z14shuffle_kernelIL17shuffle_test_type0EdEvPT0_jjm.kd
    .uniform_work_group_size: 1
    .uses_dynamic_stack: false
    .vgpr_count:     7
    .vgpr_spill_count: 0
    .wavefront_size: 32
    .workgroup_processor_mode: 1
  - .args:
      - .address_space:  global
        .offset:         0
        .size:           8
        .value_kind:     global_buffer
      - .offset:         8
        .size:           4
        .value_kind:     by_value
      - .offset:         12
        .size:           4
        .value_kind:     by_value
      - .offset:         16
        .size:           8
        .value_kind:     by_value
      - .offset:         24
        .size:           4
        .value_kind:     hidden_block_count_x
      - .offset:         28
        .size:           4
        .value_kind:     hidden_block_count_y
      - .offset:         32
        .size:           4
        .value_kind:     hidden_block_count_z
      - .offset:         36
        .size:           2
        .value_kind:     hidden_group_size_x
      - .offset:         38
        .size:           2
        .value_kind:     hidden_group_size_y
      - .offset:         40
        .size:           2
        .value_kind:     hidden_group_size_z
      - .offset:         42
        .size:           2
        .value_kind:     hidden_remainder_x
      - .offset:         44
        .size:           2
        .value_kind:     hidden_remainder_y
      - .offset:         46
        .size:           2
        .value_kind:     hidden_remainder_z
      - .offset:         64
        .size:           8
        .value_kind:     hidden_global_offset_x
      - .offset:         72
        .size:           8
        .value_kind:     hidden_global_offset_y
      - .offset:         80
        .size:           8
        .value_kind:     hidden_global_offset_z
      - .offset:         88
        .size:           2
        .value_kind:     hidden_grid_dims
    .group_segment_fixed_size: 0
    .kernarg_segment_align: 8
    .kernarg_segment_size: 280
    .language:       OpenCL C
    .language_version:
      - 2
      - 0
    .max_flat_workgroup_size: 1024
    .name:           _Z14shuffle_kernelIL17shuffle_test_type0EfEvPT0_jjm
    .private_segment_fixed_size: 0
    .sgpr_count:     18
    .sgpr_spill_count: 0
    .symbol:         _Z14shuffle_kernelIL17shuffle_test_type0EfEvPT0_jjm.kd
    .uniform_work_group_size: 1
    .uses_dynamic_stack: false
    .vgpr_count:     6
    .vgpr_spill_count: 0
    .wavefront_size: 32
    .workgroup_processor_mode: 1
  - .args:
      - .address_space:  global
        .offset:         0
        .size:           8
        .value_kind:     global_buffer
      - .offset:         8
        .size:           4
        .value_kind:     by_value
      - .offset:         12
        .size:           4
        .value_kind:     by_value
      - .offset:         16
        .size:           8
        .value_kind:     by_value
      - .offset:         24
        .size:           4
        .value_kind:     hidden_block_count_x
      - .offset:         28
        .size:           4
        .value_kind:     hidden_block_count_y
      - .offset:         32
        .size:           4
        .value_kind:     hidden_block_count_z
      - .offset:         36
        .size:           2
        .value_kind:     hidden_group_size_x
      - .offset:         38
        .size:           2
        .value_kind:     hidden_group_size_y
      - .offset:         40
        .size:           2
        .value_kind:     hidden_group_size_z
      - .offset:         42
        .size:           2
        .value_kind:     hidden_remainder_x
      - .offset:         44
        .size:           2
        .value_kind:     hidden_remainder_y
      - .offset:         46
        .size:           2
        .value_kind:     hidden_remainder_z
      - .offset:         64
        .size:           8
        .value_kind:     hidden_global_offset_x
      - .offset:         72
        .size:           8
        .value_kind:     hidden_global_offset_y
      - .offset:         80
        .size:           8
        .value_kind:     hidden_global_offset_z
      - .offset:         88
        .size:           2
        .value_kind:     hidden_grid_dims
    .group_segment_fixed_size: 0
    .kernarg_segment_align: 8
    .kernarg_segment_size: 280
    .language:       OpenCL C
    .language_version:
      - 2
      - 0
    .max_flat_workgroup_size: 1024
    .name:           _Z14shuffle_kernelIL17shuffle_test_type0EiEvPT0_jjm
    .private_segment_fixed_size: 0
    .sgpr_count:     18
    .sgpr_spill_count: 0
    .symbol:         _Z14shuffle_kernelIL17shuffle_test_type0EiEvPT0_jjm.kd
    .uniform_work_group_size: 1
    .uses_dynamic_stack: false
    .vgpr_count:     6
    .vgpr_spill_count: 0
    .wavefront_size: 32
    .workgroup_processor_mode: 1
  - .args:
      - .address_space:  global
        .offset:         0
        .size:           8
        .value_kind:     global_buffer
      - .offset:         8
        .size:           4
        .value_kind:     by_value
      - .offset:         12
        .size:           4
        .value_kind:     by_value
      - .offset:         16
        .size:           8
        .value_kind:     by_value
      - .offset:         24
        .size:           4
        .value_kind:     hidden_block_count_x
      - .offset:         28
        .size:           4
        .value_kind:     hidden_block_count_y
      - .offset:         32
        .size:           4
        .value_kind:     hidden_block_count_z
      - .offset:         36
        .size:           2
        .value_kind:     hidden_group_size_x
      - .offset:         38
        .size:           2
        .value_kind:     hidden_group_size_y
      - .offset:         40
        .size:           2
        .value_kind:     hidden_group_size_z
      - .offset:         42
        .size:           2
        .value_kind:     hidden_remainder_x
      - .offset:         44
        .size:           2
        .value_kind:     hidden_remainder_y
      - .offset:         46
        .size:           2
        .value_kind:     hidden_remainder_z
      - .offset:         64
        .size:           8
        .value_kind:     hidden_global_offset_x
      - .offset:         72
        .size:           8
        .value_kind:     hidden_global_offset_y
      - .offset:         80
        .size:           8
        .value_kind:     hidden_global_offset_z
      - .offset:         88
        .size:           2
        .value_kind:     hidden_grid_dims
    .group_segment_fixed_size: 0
    .kernarg_segment_align: 8
    .kernarg_segment_size: 280
    .language:       OpenCL C
    .language_version:
      - 2
      - 0
    .max_flat_workgroup_size: 1024
    .name:           _Z14shuffle_kernelIL17shuffle_test_type1E16custom_16alignedEvPT0_jjm
    .private_segment_fixed_size: 0
    .sgpr_count:     18
    .sgpr_spill_count: 0
    .symbol:         _Z14shuffle_kernelIL17shuffle_test_type1E16custom_16alignedEvPT0_jjm.kd
    .uniform_work_group_size: 1
    .uses_dynamic_stack: false
    .vgpr_count:     10
    .vgpr_spill_count: 0
    .wavefront_size: 32
    .workgroup_processor_mode: 1
  - .args:
      - .address_space:  global
        .offset:         0
        .size:           8
        .value_kind:     global_buffer
      - .offset:         8
        .size:           4
        .value_kind:     by_value
      - .offset:         12
        .size:           4
        .value_kind:     by_value
      - .offset:         16
        .size:           8
        .value_kind:     by_value
      - .offset:         24
        .size:           4
        .value_kind:     hidden_block_count_x
      - .offset:         28
        .size:           4
        .value_kind:     hidden_block_count_y
      - .offset:         32
        .size:           4
        .value_kind:     hidden_block_count_z
      - .offset:         36
        .size:           2
        .value_kind:     hidden_group_size_x
      - .offset:         38
        .size:           2
        .value_kind:     hidden_group_size_y
      - .offset:         40
        .size:           2
        .value_kind:     hidden_group_size_z
      - .offset:         42
        .size:           2
        .value_kind:     hidden_remainder_x
      - .offset:         44
        .size:           2
        .value_kind:     hidden_remainder_y
      - .offset:         46
        .size:           2
        .value_kind:     hidden_remainder_z
      - .offset:         64
        .size:           8
        .value_kind:     hidden_global_offset_x
      - .offset:         72
        .size:           8
        .value_kind:     hidden_global_offset_y
      - .offset:         80
        .size:           8
        .value_kind:     hidden_global_offset_z
      - .offset:         88
        .size:           2
        .value_kind:     hidden_grid_dims
    .group_segment_fixed_size: 0
    .kernarg_segment_align: 8
    .kernarg_segment_size: 280
    .language:       OpenCL C
    .language_version:
      - 2
      - 0
    .max_flat_workgroup_size: 1024
    .name:           _Z14shuffle_kernelIL17shuffle_test_type1E17custom_notalignedEvPT0_jjm
    .private_segment_fixed_size: 0
    .sgpr_count:     18
    .sgpr_spill_count: 0
    .symbol:         _Z14shuffle_kernelIL17shuffle_test_type1E17custom_notalignedEvPT0_jjm.kd
    .uniform_work_group_size: 1
    .uses_dynamic_stack: false
    .vgpr_count:     9
    .vgpr_spill_count: 0
    .wavefront_size: 32
    .workgroup_processor_mode: 1
  - .args:
      - .address_space:  global
        .offset:         0
        .size:           8
        .value_kind:     global_buffer
      - .offset:         8
        .size:           4
        .value_kind:     by_value
      - .offset:         12
        .size:           4
        .value_kind:     by_value
      - .offset:         16
        .size:           8
        .value_kind:     by_value
      - .offset:         24
        .size:           4
        .value_kind:     hidden_block_count_x
      - .offset:         28
        .size:           4
        .value_kind:     hidden_block_count_y
      - .offset:         32
        .size:           4
        .value_kind:     hidden_block_count_z
      - .offset:         36
        .size:           2
        .value_kind:     hidden_group_size_x
      - .offset:         38
        .size:           2
        .value_kind:     hidden_group_size_y
      - .offset:         40
        .size:           2
        .value_kind:     hidden_group_size_z
      - .offset:         42
        .size:           2
        .value_kind:     hidden_remainder_x
      - .offset:         44
        .size:           2
        .value_kind:     hidden_remainder_y
      - .offset:         46
        .size:           2
        .value_kind:     hidden_remainder_z
      - .offset:         64
        .size:           8
        .value_kind:     hidden_global_offset_x
      - .offset:         72
        .size:           8
        .value_kind:     hidden_global_offset_y
      - .offset:         80
        .size:           8
        .value_kind:     hidden_global_offset_z
      - .offset:         88
        .size:           2
        .value_kind:     hidden_grid_dims
    .group_segment_fixed_size: 0
    .kernarg_segment_align: 8
    .kernarg_segment_size: 280
    .language:       OpenCL C
    .language_version:
      - 2
      - 0
    .max_flat_workgroup_size: 1024
    .name:           _Z14shuffle_kernelIL17shuffle_test_type1EhEvPT0_jjm
    .private_segment_fixed_size: 0
    .sgpr_count:     18
    .sgpr_spill_count: 0
    .symbol:         _Z14shuffle_kernelIL17shuffle_test_type1EhEvPT0_jjm.kd
    .uniform_work_group_size: 1
    .uses_dynamic_stack: false
    .vgpr_count:     5
    .vgpr_spill_count: 0
    .wavefront_size: 32
    .workgroup_processor_mode: 1
  - .args:
      - .address_space:  global
        .offset:         0
        .size:           8
        .value_kind:     global_buffer
      - .offset:         8
        .size:           4
        .value_kind:     by_value
      - .offset:         12
        .size:           4
        .value_kind:     by_value
      - .offset:         16
        .size:           8
        .value_kind:     by_value
      - .offset:         24
        .size:           4
        .value_kind:     hidden_block_count_x
      - .offset:         28
        .size:           4
        .value_kind:     hidden_block_count_y
      - .offset:         32
        .size:           4
        .value_kind:     hidden_block_count_z
      - .offset:         36
        .size:           2
        .value_kind:     hidden_group_size_x
      - .offset:         38
        .size:           2
        .value_kind:     hidden_group_size_y
      - .offset:         40
        .size:           2
        .value_kind:     hidden_group_size_z
      - .offset:         42
        .size:           2
        .value_kind:     hidden_remainder_x
      - .offset:         44
        .size:           2
        .value_kind:     hidden_remainder_y
      - .offset:         46
        .size:           2
        .value_kind:     hidden_remainder_z
      - .offset:         64
        .size:           8
        .value_kind:     hidden_global_offset_x
      - .offset:         72
        .size:           8
        .value_kind:     hidden_global_offset_y
      - .offset:         80
        .size:           8
        .value_kind:     hidden_global_offset_z
      - .offset:         88
        .size:           2
        .value_kind:     hidden_grid_dims
    .group_segment_fixed_size: 0
    .kernarg_segment_align: 8
    .kernarg_segment_size: 280
    .language:       OpenCL C
    .language_version:
      - 2
      - 0
    .max_flat_workgroup_size: 1024
    .name:           _Z14shuffle_kernelIL17shuffle_test_type1EdEvPT0_jjm
    .private_segment_fixed_size: 0
    .sgpr_count:     18
    .sgpr_spill_count: 0
    .symbol:         _Z14shuffle_kernelIL17shuffle_test_type1EdEvPT0_jjm.kd
    .uniform_work_group_size: 1
    .uses_dynamic_stack: false
    .vgpr_count:     6
    .vgpr_spill_count: 0
    .wavefront_size: 32
    .workgroup_processor_mode: 1
  - .args:
      - .address_space:  global
        .offset:         0
        .size:           8
        .value_kind:     global_buffer
      - .offset:         8
        .size:           4
        .value_kind:     by_value
      - .offset:         12
        .size:           4
        .value_kind:     by_value
      - .offset:         16
        .size:           8
        .value_kind:     by_value
      - .offset:         24
        .size:           4
        .value_kind:     hidden_block_count_x
      - .offset:         28
        .size:           4
        .value_kind:     hidden_block_count_y
      - .offset:         32
        .size:           4
        .value_kind:     hidden_block_count_z
      - .offset:         36
        .size:           2
        .value_kind:     hidden_group_size_x
      - .offset:         38
        .size:           2
        .value_kind:     hidden_group_size_y
      - .offset:         40
        .size:           2
        .value_kind:     hidden_group_size_z
      - .offset:         42
        .size:           2
        .value_kind:     hidden_remainder_x
      - .offset:         44
        .size:           2
        .value_kind:     hidden_remainder_y
      - .offset:         46
        .size:           2
        .value_kind:     hidden_remainder_z
      - .offset:         64
        .size:           8
        .value_kind:     hidden_global_offset_x
      - .offset:         72
        .size:           8
        .value_kind:     hidden_global_offset_y
      - .offset:         80
        .size:           8
        .value_kind:     hidden_global_offset_z
      - .offset:         88
        .size:           2
        .value_kind:     hidden_grid_dims
    .group_segment_fixed_size: 0
    .kernarg_segment_align: 8
    .kernarg_segment_size: 280
    .language:       OpenCL C
    .language_version:
      - 2
      - 0
    .max_flat_workgroup_size: 1024
    .name:           _Z14shuffle_kernelIL17shuffle_test_type1EfEvPT0_jjm
    .private_segment_fixed_size: 0
    .sgpr_count:     18
    .sgpr_spill_count: 0
    .symbol:         _Z14shuffle_kernelIL17shuffle_test_type1EfEvPT0_jjm.kd
    .uniform_work_group_size: 1
    .uses_dynamic_stack: false
    .vgpr_count:     6
    .vgpr_spill_count: 0
    .wavefront_size: 32
    .workgroup_processor_mode: 1
  - .args:
      - .address_space:  global
        .offset:         0
        .size:           8
        .value_kind:     global_buffer
      - .offset:         8
        .size:           4
        .value_kind:     by_value
      - .offset:         12
        .size:           4
        .value_kind:     by_value
      - .offset:         16
        .size:           8
        .value_kind:     by_value
      - .offset:         24
        .size:           4
        .value_kind:     hidden_block_count_x
      - .offset:         28
        .size:           4
        .value_kind:     hidden_block_count_y
      - .offset:         32
        .size:           4
        .value_kind:     hidden_block_count_z
      - .offset:         36
        .size:           2
        .value_kind:     hidden_group_size_x
      - .offset:         38
        .size:           2
        .value_kind:     hidden_group_size_y
      - .offset:         40
        .size:           2
        .value_kind:     hidden_group_size_z
      - .offset:         42
        .size:           2
        .value_kind:     hidden_remainder_x
      - .offset:         44
        .size:           2
        .value_kind:     hidden_remainder_y
      - .offset:         46
        .size:           2
        .value_kind:     hidden_remainder_z
      - .offset:         64
        .size:           8
        .value_kind:     hidden_global_offset_x
      - .offset:         72
        .size:           8
        .value_kind:     hidden_global_offset_y
      - .offset:         80
        .size:           8
        .value_kind:     hidden_global_offset_z
      - .offset:         88
        .size:           2
        .value_kind:     hidden_grid_dims
    .group_segment_fixed_size: 0
    .kernarg_segment_align: 8
    .kernarg_segment_size: 280
    .language:       OpenCL C
    .language_version:
      - 2
      - 0
    .max_flat_workgroup_size: 1024
    .name:           _Z14shuffle_kernelIL17shuffle_test_type1EiEvPT0_jjm
    .private_segment_fixed_size: 0
    .sgpr_count:     18
    .sgpr_spill_count: 0
    .symbol:         _Z14shuffle_kernelIL17shuffle_test_type1EiEvPT0_jjm.kd
    .uniform_work_group_size: 1
    .uses_dynamic_stack: false
    .vgpr_count:     6
    .vgpr_spill_count: 0
    .wavefront_size: 32
    .workgroup_processor_mode: 1
  - .args:
      - .address_space:  global
        .offset:         0
        .size:           8
        .value_kind:     global_buffer
      - .offset:         8
        .size:           4
        .value_kind:     by_value
      - .offset:         12
        .size:           4
        .value_kind:     by_value
      - .offset:         16
        .size:           8
        .value_kind:     by_value
      - .offset:         24
        .size:           4
        .value_kind:     hidden_block_count_x
      - .offset:         28
        .size:           4
        .value_kind:     hidden_block_count_y
      - .offset:         32
        .size:           4
        .value_kind:     hidden_block_count_z
      - .offset:         36
        .size:           2
        .value_kind:     hidden_group_size_x
      - .offset:         38
        .size:           2
        .value_kind:     hidden_group_size_y
      - .offset:         40
        .size:           2
        .value_kind:     hidden_group_size_z
      - .offset:         42
        .size:           2
        .value_kind:     hidden_remainder_x
      - .offset:         44
        .size:           2
        .value_kind:     hidden_remainder_y
      - .offset:         46
        .size:           2
        .value_kind:     hidden_remainder_z
      - .offset:         64
        .size:           8
        .value_kind:     hidden_global_offset_x
      - .offset:         72
        .size:           8
        .value_kind:     hidden_global_offset_y
      - .offset:         80
        .size:           8
        .value_kind:     hidden_global_offset_z
      - .offset:         88
        .size:           2
        .value_kind:     hidden_grid_dims
    .group_segment_fixed_size: 0
    .kernarg_segment_align: 8
    .kernarg_segment_size: 280
    .language:       OpenCL C
    .language_version:
      - 2
      - 0
    .max_flat_workgroup_size: 1024
    .name:           _Z14shuffle_kernelIL17shuffle_test_type2E16custom_16alignedEvPT0_jjm
    .private_segment_fixed_size: 0
    .sgpr_count:     18
    .sgpr_spill_count: 0
    .symbol:         _Z14shuffle_kernelIL17shuffle_test_type2E16custom_16alignedEvPT0_jjm.kd
    .uniform_work_group_size: 1
    .uses_dynamic_stack: false
    .vgpr_count:     10
    .vgpr_spill_count: 0
    .wavefront_size: 32
    .workgroup_processor_mode: 1
  - .args:
      - .address_space:  global
        .offset:         0
        .size:           8
        .value_kind:     global_buffer
      - .offset:         8
        .size:           4
        .value_kind:     by_value
      - .offset:         12
        .size:           4
        .value_kind:     by_value
      - .offset:         16
        .size:           8
        .value_kind:     by_value
      - .offset:         24
        .size:           4
        .value_kind:     hidden_block_count_x
      - .offset:         28
        .size:           4
        .value_kind:     hidden_block_count_y
      - .offset:         32
        .size:           4
        .value_kind:     hidden_block_count_z
      - .offset:         36
        .size:           2
        .value_kind:     hidden_group_size_x
      - .offset:         38
        .size:           2
        .value_kind:     hidden_group_size_y
      - .offset:         40
        .size:           2
        .value_kind:     hidden_group_size_z
      - .offset:         42
        .size:           2
        .value_kind:     hidden_remainder_x
      - .offset:         44
        .size:           2
        .value_kind:     hidden_remainder_y
      - .offset:         46
        .size:           2
        .value_kind:     hidden_remainder_z
      - .offset:         64
        .size:           8
        .value_kind:     hidden_global_offset_x
      - .offset:         72
        .size:           8
        .value_kind:     hidden_global_offset_y
      - .offset:         80
        .size:           8
        .value_kind:     hidden_global_offset_z
      - .offset:         88
        .size:           2
        .value_kind:     hidden_grid_dims
    .group_segment_fixed_size: 0
    .kernarg_segment_align: 8
    .kernarg_segment_size: 280
    .language:       OpenCL C
    .language_version:
      - 2
      - 0
    .max_flat_workgroup_size: 1024
    .name:           _Z14shuffle_kernelIL17shuffle_test_type2E17custom_notalignedEvPT0_jjm
    .private_segment_fixed_size: 0
    .sgpr_count:     18
    .sgpr_spill_count: 0
    .symbol:         _Z14shuffle_kernelIL17shuffle_test_type2E17custom_notalignedEvPT0_jjm.kd
    .uniform_work_group_size: 1
    .uses_dynamic_stack: false
    .vgpr_count:     10
    .vgpr_spill_count: 0
    .wavefront_size: 32
    .workgroup_processor_mode: 1
  - .args:
      - .address_space:  global
        .offset:         0
        .size:           8
        .value_kind:     global_buffer
      - .offset:         8
        .size:           4
        .value_kind:     by_value
      - .offset:         12
        .size:           4
        .value_kind:     by_value
      - .offset:         16
        .size:           8
        .value_kind:     by_value
      - .offset:         24
        .size:           4
        .value_kind:     hidden_block_count_x
      - .offset:         28
        .size:           4
        .value_kind:     hidden_block_count_y
      - .offset:         32
        .size:           4
        .value_kind:     hidden_block_count_z
      - .offset:         36
        .size:           2
        .value_kind:     hidden_group_size_x
      - .offset:         38
        .size:           2
        .value_kind:     hidden_group_size_y
      - .offset:         40
        .size:           2
        .value_kind:     hidden_group_size_z
      - .offset:         42
        .size:           2
        .value_kind:     hidden_remainder_x
      - .offset:         44
        .size:           2
        .value_kind:     hidden_remainder_y
      - .offset:         46
        .size:           2
        .value_kind:     hidden_remainder_z
      - .offset:         64
        .size:           8
        .value_kind:     hidden_global_offset_x
      - .offset:         72
        .size:           8
        .value_kind:     hidden_global_offset_y
      - .offset:         80
        .size:           8
        .value_kind:     hidden_global_offset_z
      - .offset:         88
        .size:           2
        .value_kind:     hidden_grid_dims
    .group_segment_fixed_size: 0
    .kernarg_segment_align: 8
    .kernarg_segment_size: 280
    .language:       OpenCL C
    .language_version:
      - 2
      - 0
    .max_flat_workgroup_size: 1024
    .name:           _Z14shuffle_kernelIL17shuffle_test_type2EhEvPT0_jjm
    .private_segment_fixed_size: 0
    .sgpr_count:     18
    .sgpr_spill_count: 0
    .symbol:         _Z14shuffle_kernelIL17shuffle_test_type2EhEvPT0_jjm.kd
    .uniform_work_group_size: 1
    .uses_dynamic_stack: false
    .vgpr_count:     6
    .vgpr_spill_count: 0
    .wavefront_size: 32
    .workgroup_processor_mode: 1
  - .args:
      - .address_space:  global
        .offset:         0
        .size:           8
        .value_kind:     global_buffer
      - .offset:         8
        .size:           4
        .value_kind:     by_value
      - .offset:         12
        .size:           4
        .value_kind:     by_value
      - .offset:         16
        .size:           8
        .value_kind:     by_value
      - .offset:         24
        .size:           4
        .value_kind:     hidden_block_count_x
      - .offset:         28
        .size:           4
        .value_kind:     hidden_block_count_y
      - .offset:         32
        .size:           4
        .value_kind:     hidden_block_count_z
      - .offset:         36
        .size:           2
        .value_kind:     hidden_group_size_x
      - .offset:         38
        .size:           2
        .value_kind:     hidden_group_size_y
      - .offset:         40
        .size:           2
        .value_kind:     hidden_group_size_z
      - .offset:         42
        .size:           2
        .value_kind:     hidden_remainder_x
      - .offset:         44
        .size:           2
        .value_kind:     hidden_remainder_y
      - .offset:         46
        .size:           2
        .value_kind:     hidden_remainder_z
      - .offset:         64
        .size:           8
        .value_kind:     hidden_global_offset_x
      - .offset:         72
        .size:           8
        .value_kind:     hidden_global_offset_y
      - .offset:         80
        .size:           8
        .value_kind:     hidden_global_offset_z
      - .offset:         88
        .size:           2
        .value_kind:     hidden_grid_dims
    .group_segment_fixed_size: 0
    .kernarg_segment_align: 8
    .kernarg_segment_size: 280
    .language:       OpenCL C
    .language_version:
      - 2
      - 0
    .max_flat_workgroup_size: 1024
    .name:           _Z14shuffle_kernelIL17shuffle_test_type2EdEvPT0_jjm
    .private_segment_fixed_size: 0
    .sgpr_count:     18
    .sgpr_spill_count: 0
    .symbol:         _Z14shuffle_kernelIL17shuffle_test_type2EdEvPT0_jjm.kd
    .uniform_work_group_size: 1
    .uses_dynamic_stack: false
    .vgpr_count:     7
    .vgpr_spill_count: 0
    .wavefront_size: 32
    .workgroup_processor_mode: 1
  - .args:
      - .address_space:  global
        .offset:         0
        .size:           8
        .value_kind:     global_buffer
      - .offset:         8
        .size:           4
        .value_kind:     by_value
      - .offset:         12
        .size:           4
        .value_kind:     by_value
      - .offset:         16
        .size:           8
        .value_kind:     by_value
      - .offset:         24
        .size:           4
        .value_kind:     hidden_block_count_x
      - .offset:         28
        .size:           4
        .value_kind:     hidden_block_count_y
      - .offset:         32
        .size:           4
        .value_kind:     hidden_block_count_z
      - .offset:         36
        .size:           2
        .value_kind:     hidden_group_size_x
      - .offset:         38
        .size:           2
        .value_kind:     hidden_group_size_y
      - .offset:         40
        .size:           2
        .value_kind:     hidden_group_size_z
      - .offset:         42
        .size:           2
        .value_kind:     hidden_remainder_x
      - .offset:         44
        .size:           2
        .value_kind:     hidden_remainder_y
      - .offset:         46
        .size:           2
        .value_kind:     hidden_remainder_z
      - .offset:         64
        .size:           8
        .value_kind:     hidden_global_offset_x
      - .offset:         72
        .size:           8
        .value_kind:     hidden_global_offset_y
      - .offset:         80
        .size:           8
        .value_kind:     hidden_global_offset_z
      - .offset:         88
        .size:           2
        .value_kind:     hidden_grid_dims
    .group_segment_fixed_size: 0
    .kernarg_segment_align: 8
    .kernarg_segment_size: 280
    .language:       OpenCL C
    .language_version:
      - 2
      - 0
    .max_flat_workgroup_size: 1024
    .name:           _Z14shuffle_kernelIL17shuffle_test_type2EfEvPT0_jjm
    .private_segment_fixed_size: 0
    .sgpr_count:     18
    .sgpr_spill_count: 0
    .symbol:         _Z14shuffle_kernelIL17shuffle_test_type2EfEvPT0_jjm.kd
    .uniform_work_group_size: 1
    .uses_dynamic_stack: false
    .vgpr_count:     6
    .vgpr_spill_count: 0
    .wavefront_size: 32
    .workgroup_processor_mode: 1
  - .args:
      - .address_space:  global
        .offset:         0
        .size:           8
        .value_kind:     global_buffer
      - .offset:         8
        .size:           4
        .value_kind:     by_value
      - .offset:         12
        .size:           4
        .value_kind:     by_value
      - .offset:         16
        .size:           8
        .value_kind:     by_value
      - .offset:         24
        .size:           4
        .value_kind:     hidden_block_count_x
      - .offset:         28
        .size:           4
        .value_kind:     hidden_block_count_y
      - .offset:         32
        .size:           4
        .value_kind:     hidden_block_count_z
      - .offset:         36
        .size:           2
        .value_kind:     hidden_group_size_x
      - .offset:         38
        .size:           2
        .value_kind:     hidden_group_size_y
      - .offset:         40
        .size:           2
        .value_kind:     hidden_group_size_z
      - .offset:         42
        .size:           2
        .value_kind:     hidden_remainder_x
      - .offset:         44
        .size:           2
        .value_kind:     hidden_remainder_y
      - .offset:         46
        .size:           2
        .value_kind:     hidden_remainder_z
      - .offset:         64
        .size:           8
        .value_kind:     hidden_global_offset_x
      - .offset:         72
        .size:           8
        .value_kind:     hidden_global_offset_y
      - .offset:         80
        .size:           8
        .value_kind:     hidden_global_offset_z
      - .offset:         88
        .size:           2
        .value_kind:     hidden_grid_dims
    .group_segment_fixed_size: 0
    .kernarg_segment_align: 8
    .kernarg_segment_size: 280
    .language:       OpenCL C
    .language_version:
      - 2
      - 0
    .max_flat_workgroup_size: 1024
    .name:           _Z14shuffle_kernelIL17shuffle_test_type2EiEvPT0_jjm
    .private_segment_fixed_size: 0
    .sgpr_count:     18
    .sgpr_spill_count: 0
    .symbol:         _Z14shuffle_kernelIL17shuffle_test_type2EiEvPT0_jjm.kd
    .uniform_work_group_size: 1
    .uses_dynamic_stack: false
    .vgpr_count:     6
    .vgpr_spill_count: 0
    .wavefront_size: 32
    .workgroup_processor_mode: 1
  - .args:
      - .address_space:  global
        .offset:         0
        .size:           8
        .value_kind:     global_buffer
      - .address_space:  global
        .offset:         8
        .size:           8
        .value_kind:     global_buffer
      - .offset:         16
        .size:           4
        .value_kind:     by_value
      - .offset:         24
        .size:           4
        .value_kind:     hidden_block_count_x
      - .offset:         28
        .size:           4
        .value_kind:     hidden_block_count_y
      - .offset:         32
        .size:           4
        .value_kind:     hidden_block_count_z
      - .offset:         36
        .size:           2
        .value_kind:     hidden_group_size_x
      - .offset:         38
        .size:           2
        .value_kind:     hidden_group_size_y
      - .offset:         40
        .size:           2
        .value_kind:     hidden_group_size_z
      - .offset:         42
        .size:           2
        .value_kind:     hidden_remainder_x
      - .offset:         44
        .size:           2
        .value_kind:     hidden_remainder_y
      - .offset:         46
        .size:           2
        .value_kind:     hidden_remainder_z
      - .offset:         64
        .size:           8
        .value_kind:     hidden_global_offset_x
      - .offset:         72
        .size:           8
        .value_kind:     hidden_global_offset_y
      - .offset:         80
        .size:           8
        .value_kind:     hidden_global_offset_z
      - .offset:         88
        .size:           2
        .value_kind:     hidden_grid_dims
    .group_segment_fixed_size: 0
    .kernarg_segment_align: 8
    .kernarg_segment_size: 280
    .language:       OpenCL C
    .language_version:
      - 2
      - 0
    .max_flat_workgroup_size: 256
    .name:           _Z20shuffle_index_kernelI16custom_16alignedEvPT_Pij
    .private_segment_fixed_size: 0
    .sgpr_count:     18
    .sgpr_spill_count: 0
    .symbol:         _Z20shuffle_index_kernelI16custom_16alignedEvPT_Pij.kd
    .uniform_work_group_size: 1
    .uses_dynamic_stack: false
    .vgpr_count:     7
    .vgpr_spill_count: 0
    .wavefront_size: 32
    .workgroup_processor_mode: 1
  - .args:
      - .address_space:  global
        .offset:         0
        .size:           8
        .value_kind:     global_buffer
      - .address_space:  global
        .offset:         8
        .size:           8
        .value_kind:     global_buffer
      - .offset:         16
        .size:           4
        .value_kind:     by_value
      - .offset:         24
        .size:           4
        .value_kind:     hidden_block_count_x
      - .offset:         28
        .size:           4
        .value_kind:     hidden_block_count_y
      - .offset:         32
        .size:           4
        .value_kind:     hidden_block_count_z
      - .offset:         36
        .size:           2
        .value_kind:     hidden_group_size_x
      - .offset:         38
        .size:           2
        .value_kind:     hidden_group_size_y
      - .offset:         40
        .size:           2
        .value_kind:     hidden_group_size_z
      - .offset:         42
        .size:           2
        .value_kind:     hidden_remainder_x
      - .offset:         44
        .size:           2
        .value_kind:     hidden_remainder_y
      - .offset:         46
        .size:           2
        .value_kind:     hidden_remainder_z
      - .offset:         64
        .size:           8
        .value_kind:     hidden_global_offset_x
      - .offset:         72
        .size:           8
        .value_kind:     hidden_global_offset_y
      - .offset:         80
        .size:           8
        .value_kind:     hidden_global_offset_z
      - .offset:         88
        .size:           2
        .value_kind:     hidden_grid_dims
    .group_segment_fixed_size: 0
    .kernarg_segment_align: 8
    .kernarg_segment_size: 280
    .language:       OpenCL C
    .language_version:
      - 2
      - 0
    .max_flat_workgroup_size: 256
    .name:           _Z20shuffle_index_kernelI17custom_notalignedEvPT_Pij
    .private_segment_fixed_size: 0
    .sgpr_count:     18
    .sgpr_spill_count: 0
    .symbol:         _Z20shuffle_index_kernelI17custom_notalignedEvPT_Pij.kd
    .uniform_work_group_size: 1
    .uses_dynamic_stack: false
    .vgpr_count:     9
    .vgpr_spill_count: 0
    .wavefront_size: 32
    .workgroup_processor_mode: 1
  - .args:
      - .address_space:  global
        .offset:         0
        .size:           8
        .value_kind:     global_buffer
      - .address_space:  global
        .offset:         8
        .size:           8
        .value_kind:     global_buffer
      - .offset:         16
        .size:           4
        .value_kind:     by_value
      - .offset:         24
        .size:           4
        .value_kind:     hidden_block_count_x
      - .offset:         28
        .size:           4
        .value_kind:     hidden_block_count_y
      - .offset:         32
        .size:           4
        .value_kind:     hidden_block_count_z
      - .offset:         36
        .size:           2
        .value_kind:     hidden_group_size_x
      - .offset:         38
        .size:           2
        .value_kind:     hidden_group_size_y
      - .offset:         40
        .size:           2
        .value_kind:     hidden_group_size_z
      - .offset:         42
        .size:           2
        .value_kind:     hidden_remainder_x
      - .offset:         44
        .size:           2
        .value_kind:     hidden_remainder_y
      - .offset:         46
        .size:           2
        .value_kind:     hidden_remainder_z
      - .offset:         64
        .size:           8
        .value_kind:     hidden_global_offset_x
      - .offset:         72
        .size:           8
        .value_kind:     hidden_global_offset_y
      - .offset:         80
        .size:           8
        .value_kind:     hidden_global_offset_z
      - .offset:         88
        .size:           2
        .value_kind:     hidden_grid_dims
    .group_segment_fixed_size: 0
    .kernarg_segment_align: 8
    .kernarg_segment_size: 280
    .language:       OpenCL C
    .language_version:
      - 2
      - 0
    .max_flat_workgroup_size: 256
    .name:           _Z20shuffle_index_kernelIhEvPT_Pij
    .private_segment_fixed_size: 0
    .sgpr_count:     18
    .sgpr_spill_count: 0
    .symbol:         _Z20shuffle_index_kernelIhEvPT_Pij.kd
    .uniform_work_group_size: 1
    .uses_dynamic_stack: false
    .vgpr_count:     5
    .vgpr_spill_count: 0
    .wavefront_size: 32
    .workgroup_processor_mode: 1
  - .args:
      - .address_space:  global
        .offset:         0
        .size:           8
        .value_kind:     global_buffer
      - .address_space:  global
        .offset:         8
        .size:           8
        .value_kind:     global_buffer
      - .offset:         16
        .size:           4
        .value_kind:     by_value
      - .offset:         24
        .size:           4
        .value_kind:     hidden_block_count_x
      - .offset:         28
        .size:           4
        .value_kind:     hidden_block_count_y
      - .offset:         32
        .size:           4
        .value_kind:     hidden_block_count_z
      - .offset:         36
        .size:           2
        .value_kind:     hidden_group_size_x
      - .offset:         38
        .size:           2
        .value_kind:     hidden_group_size_y
      - .offset:         40
        .size:           2
        .value_kind:     hidden_group_size_z
      - .offset:         42
        .size:           2
        .value_kind:     hidden_remainder_x
      - .offset:         44
        .size:           2
        .value_kind:     hidden_remainder_y
      - .offset:         46
        .size:           2
        .value_kind:     hidden_remainder_z
      - .offset:         64
        .size:           8
        .value_kind:     hidden_global_offset_x
      - .offset:         72
        .size:           8
        .value_kind:     hidden_global_offset_y
      - .offset:         80
        .size:           8
        .value_kind:     hidden_global_offset_z
      - .offset:         88
        .size:           2
        .value_kind:     hidden_grid_dims
    .group_segment_fixed_size: 0
    .kernarg_segment_align: 8
    .kernarg_segment_size: 280
    .language:       OpenCL C
    .language_version:
      - 2
      - 0
    .max_flat_workgroup_size: 256
    .name:           _Z20shuffle_index_kernelIdEvPT_Pij
    .private_segment_fixed_size: 0
    .sgpr_count:     18
    .sgpr_spill_count: 0
    .symbol:         _Z20shuffle_index_kernelIdEvPT_Pij.kd
    .uniform_work_group_size: 1
    .uses_dynamic_stack: false
    .vgpr_count:     6
    .vgpr_spill_count: 0
    .wavefront_size: 32
    .workgroup_processor_mode: 1
  - .args:
      - .address_space:  global
        .offset:         0
        .size:           8
        .value_kind:     global_buffer
      - .address_space:  global
        .offset:         8
        .size:           8
        .value_kind:     global_buffer
      - .offset:         16
        .size:           4
        .value_kind:     by_value
      - .offset:         24
        .size:           4
        .value_kind:     hidden_block_count_x
      - .offset:         28
        .size:           4
        .value_kind:     hidden_block_count_y
      - .offset:         32
        .size:           4
        .value_kind:     hidden_block_count_z
      - .offset:         36
        .size:           2
        .value_kind:     hidden_group_size_x
      - .offset:         38
        .size:           2
        .value_kind:     hidden_group_size_y
      - .offset:         40
        .size:           2
        .value_kind:     hidden_group_size_z
      - .offset:         42
        .size:           2
        .value_kind:     hidden_remainder_x
      - .offset:         44
        .size:           2
        .value_kind:     hidden_remainder_y
      - .offset:         46
        .size:           2
        .value_kind:     hidden_remainder_z
      - .offset:         64
        .size:           8
        .value_kind:     hidden_global_offset_x
      - .offset:         72
        .size:           8
        .value_kind:     hidden_global_offset_y
      - .offset:         80
        .size:           8
        .value_kind:     hidden_global_offset_z
      - .offset:         88
        .size:           2
        .value_kind:     hidden_grid_dims
    .group_segment_fixed_size: 0
    .kernarg_segment_align: 8
    .kernarg_segment_size: 280
    .language:       OpenCL C
    .language_version:
      - 2
      - 0
    .max_flat_workgroup_size: 256
    .name:           _Z20shuffle_index_kernelIfEvPT_Pij
    .private_segment_fixed_size: 0
    .sgpr_count:     18
    .sgpr_spill_count: 0
    .symbol:         _Z20shuffle_index_kernelIfEvPT_Pij.kd
    .uniform_work_group_size: 1
    .uses_dynamic_stack: false
    .vgpr_count:     5
    .vgpr_spill_count: 0
    .wavefront_size: 32
    .workgroup_processor_mode: 1
  - .args:
      - .address_space:  global
        .offset:         0
        .size:           8
        .value_kind:     global_buffer
      - .address_space:  global
        .offset:         8
        .size:           8
        .value_kind:     global_buffer
      - .offset:         16
        .size:           4
        .value_kind:     by_value
      - .offset:         24
        .size:           4
        .value_kind:     hidden_block_count_x
      - .offset:         28
        .size:           4
        .value_kind:     hidden_block_count_y
      - .offset:         32
        .size:           4
        .value_kind:     hidden_block_count_z
      - .offset:         36
        .size:           2
        .value_kind:     hidden_group_size_x
      - .offset:         38
        .size:           2
        .value_kind:     hidden_group_size_y
      - .offset:         40
        .size:           2
        .value_kind:     hidden_group_size_z
      - .offset:         42
        .size:           2
        .value_kind:     hidden_remainder_x
      - .offset:         44
        .size:           2
        .value_kind:     hidden_remainder_y
      - .offset:         46
        .size:           2
        .value_kind:     hidden_remainder_z
      - .offset:         64
        .size:           8
        .value_kind:     hidden_global_offset_x
      - .offset:         72
        .size:           8
        .value_kind:     hidden_global_offset_y
      - .offset:         80
        .size:           8
        .value_kind:     hidden_global_offset_z
      - .offset:         88
        .size:           2
        .value_kind:     hidden_grid_dims
    .group_segment_fixed_size: 0
    .kernarg_segment_align: 8
    .kernarg_segment_size: 280
    .language:       OpenCL C
    .language_version:
      - 2
      - 0
    .max_flat_workgroup_size: 256
    .name:           _Z20shuffle_index_kernelIiEvPT_Pij
    .private_segment_fixed_size: 0
    .sgpr_count:     18
    .sgpr_spill_count: 0
    .symbol:         _Z20shuffle_index_kernelIiEvPT_Pij.kd
    .uniform_work_group_size: 1
    .uses_dynamic_stack: false
    .vgpr_count:     5
    .vgpr_spill_count: 0
    .wavefront_size: 32
    .workgroup_processor_mode: 1
  - .args:
      - .address_space:  global
        .offset:         0
        .size:           8
        .value_kind:     global_buffer
      - .address_space:  global
        .offset:         8
        .size:           8
        .value_kind:     global_buffer
      - .offset:         16
        .size:           8
        .value_kind:     by_value
      - .offset:         24
        .size:           4
        .value_kind:     hidden_block_count_x
      - .offset:         28
        .size:           4
        .value_kind:     hidden_block_count_y
      - .offset:         32
        .size:           4
        .value_kind:     hidden_block_count_z
      - .offset:         36
        .size:           2
        .value_kind:     hidden_group_size_x
      - .offset:         38
        .size:           2
        .value_kind:     hidden_group_size_y
      - .offset:         40
        .size:           2
        .value_kind:     hidden_group_size_z
      - .offset:         42
        .size:           2
        .value_kind:     hidden_remainder_x
      - .offset:         44
        .size:           2
        .value_kind:     hidden_remainder_y
      - .offset:         46
        .size:           2
        .value_kind:     hidden_remainder_z
      - .offset:         64
        .size:           8
        .value_kind:     hidden_global_offset_x
      - .offset:         72
        .size:           8
        .value_kind:     hidden_global_offset_y
      - .offset:         80
        .size:           8
        .value_kind:     hidden_global_offset_z
      - .offset:         88
        .size:           2
        .value_kind:     hidden_grid_dims
    .group_segment_fixed_size: 0
    .kernarg_segment_align: 8
    .kernarg_segment_size: 280
    .language:       OpenCL C
    .language_version:
      - 2
      - 0
    .max_flat_workgroup_size: 1024
    .name:           _Z19warp_any_all_kernelIL22warp_any_all_test_type0EEvPjPKmm
    .private_segment_fixed_size: 0
    .sgpr_count:     18
    .sgpr_spill_count: 0
    .symbol:         _Z19warp_any_all_kernelIL22warp_any_all_test_type0EEvPjPKmm.kd
    .uniform_work_group_size: 1
    .uses_dynamic_stack: false
    .vgpr_count:     6
    .vgpr_spill_count: 0
    .wavefront_size: 32
    .workgroup_processor_mode: 1
  - .args:
      - .address_space:  global
        .offset:         0
        .size:           8
        .value_kind:     global_buffer
      - .address_space:  global
        .offset:         8
        .size:           8
        .value_kind:     global_buffer
      - .offset:         16
        .size:           8
        .value_kind:     by_value
      - .offset:         24
        .size:           4
        .value_kind:     hidden_block_count_x
      - .offset:         28
        .size:           4
        .value_kind:     hidden_block_count_y
      - .offset:         32
        .size:           4
        .value_kind:     hidden_block_count_z
      - .offset:         36
        .size:           2
        .value_kind:     hidden_group_size_x
      - .offset:         38
        .size:           2
        .value_kind:     hidden_group_size_y
      - .offset:         40
        .size:           2
        .value_kind:     hidden_group_size_z
      - .offset:         42
        .size:           2
        .value_kind:     hidden_remainder_x
      - .offset:         44
        .size:           2
        .value_kind:     hidden_remainder_y
      - .offset:         46
        .size:           2
        .value_kind:     hidden_remainder_z
      - .offset:         64
        .size:           8
        .value_kind:     hidden_global_offset_x
      - .offset:         72
        .size:           8
        .value_kind:     hidden_global_offset_y
      - .offset:         80
        .size:           8
        .value_kind:     hidden_global_offset_z
      - .offset:         88
        .size:           2
        .value_kind:     hidden_grid_dims
    .group_segment_fixed_size: 0
    .kernarg_segment_align: 8
    .kernarg_segment_size: 280
    .language:       OpenCL C
    .language_version:
      - 2
      - 0
    .max_flat_workgroup_size: 1024
    .name:           _Z19warp_any_all_kernelIL22warp_any_all_test_type1EEvPjPKmm
    .private_segment_fixed_size: 0
    .sgpr_count:     18
    .sgpr_spill_count: 0
    .symbol:         _Z19warp_any_all_kernelIL22warp_any_all_test_type1EEvPjPKmm.kd
    .uniform_work_group_size: 1
    .uses_dynamic_stack: false
    .vgpr_count:     6
    .vgpr_spill_count: 0
    .wavefront_size: 32
    .workgroup_processor_mode: 1
  - .args:
      - .address_space:  global
        .offset:         0
        .size:           8
        .value_kind:     global_buffer
      - .address_space:  global
        .offset:         8
        .size:           8
        .value_kind:     global_buffer
      - .address_space:  global
        .offset:         16
        .size:           8
        .value_kind:     global_buffer
      - .offset:         24
        .size:           4
        .value_kind:     by_value
      - .offset:         32
        .size:           8
        .value_kind:     by_value
      - .offset:         40
        .size:           4
        .value_kind:     hidden_block_count_x
      - .offset:         44
        .size:           4
        .value_kind:     hidden_block_count_y
      - .offset:         48
        .size:           4
        .value_kind:     hidden_block_count_z
      - .offset:         52
        .size:           2
        .value_kind:     hidden_group_size_x
      - .offset:         54
        .size:           2
        .value_kind:     hidden_group_size_y
      - .offset:         56
        .size:           2
        .value_kind:     hidden_group_size_z
      - .offset:         58
        .size:           2
        .value_kind:     hidden_remainder_x
      - .offset:         60
        .size:           2
        .value_kind:     hidden_remainder_y
      - .offset:         62
        .size:           2
        .value_kind:     hidden_remainder_z
      - .offset:         80
        .size:           8
        .value_kind:     hidden_global_offset_x
      - .offset:         88
        .size:           8
        .value_kind:     hidden_global_offset_y
      - .offset:         96
        .size:           8
        .value_kind:     hidden_global_offset_z
      - .offset:         104
        .size:           2
        .value_kind:     hidden_grid_dims
    .group_segment_fixed_size: 0
    .kernarg_segment_align: 8
    .kernarg_segment_size: 296
    .language:       OpenCL C
    .language_version:
      - 2
      - 0
    .max_flat_workgroup_size: 1024
    .name:           _Z19warp_permute_kernelI16custom_16alignedEvPT_PKS1_PKjjm
    .private_segment_fixed_size: 0
    .sgpr_count:     18
    .sgpr_spill_count: 0
    .symbol:         _Z19warp_permute_kernelI16custom_16alignedEvPT_PKS1_PKjjm.kd
    .uniform_work_group_size: 1
    .uses_dynamic_stack: false
    .vgpr_count:     12
    .vgpr_spill_count: 0
    .wavefront_size: 32
    .workgroup_processor_mode: 1
  - .args:
      - .address_space:  global
        .offset:         0
        .size:           8
        .value_kind:     global_buffer
      - .address_space:  global
        .offset:         8
        .size:           8
        .value_kind:     global_buffer
      - .address_space:  global
        .offset:         16
        .size:           8
        .value_kind:     global_buffer
      - .offset:         24
        .size:           4
        .value_kind:     by_value
      - .offset:         32
        .size:           8
        .value_kind:     by_value
      - .offset:         40
        .size:           4
        .value_kind:     hidden_block_count_x
      - .offset:         44
        .size:           4
        .value_kind:     hidden_block_count_y
      - .offset:         48
        .size:           4
        .value_kind:     hidden_block_count_z
      - .offset:         52
        .size:           2
        .value_kind:     hidden_group_size_x
      - .offset:         54
        .size:           2
        .value_kind:     hidden_group_size_y
      - .offset:         56
        .size:           2
        .value_kind:     hidden_group_size_z
      - .offset:         58
        .size:           2
        .value_kind:     hidden_remainder_x
      - .offset:         60
        .size:           2
        .value_kind:     hidden_remainder_y
      - .offset:         62
        .size:           2
        .value_kind:     hidden_remainder_z
      - .offset:         80
        .size:           8
        .value_kind:     hidden_global_offset_x
      - .offset:         88
        .size:           8
        .value_kind:     hidden_global_offset_y
      - .offset:         96
        .size:           8
        .value_kind:     hidden_global_offset_z
      - .offset:         104
        .size:           2
        .value_kind:     hidden_grid_dims
    .group_segment_fixed_size: 0
    .kernarg_segment_align: 8
    .kernarg_segment_size: 296
    .language:       OpenCL C
    .language_version:
      - 2
      - 0
    .max_flat_workgroup_size: 1024
    .name:           _Z19warp_permute_kernelI17custom_notalignedEvPT_PKS1_PKjjm
    .private_segment_fixed_size: 0
    .sgpr_count:     18
    .sgpr_spill_count: 0
    .symbol:         _Z19warp_permute_kernelI17custom_notalignedEvPT_PKS1_PKjjm.kd
    .uniform_work_group_size: 1
    .uses_dynamic_stack: false
    .vgpr_count:     9
    .vgpr_spill_count: 0
    .wavefront_size: 32
    .workgroup_processor_mode: 1
  - .args:
      - .address_space:  global
        .offset:         0
        .size:           8
        .value_kind:     global_buffer
      - .address_space:  global
        .offset:         8
        .size:           8
        .value_kind:     global_buffer
      - .address_space:  global
        .offset:         16
        .size:           8
        .value_kind:     global_buffer
      - .offset:         24
        .size:           4
        .value_kind:     by_value
      - .offset:         32
        .size:           8
        .value_kind:     by_value
      - .offset:         40
        .size:           4
        .value_kind:     hidden_block_count_x
      - .offset:         44
        .size:           4
        .value_kind:     hidden_block_count_y
      - .offset:         48
        .size:           4
        .value_kind:     hidden_block_count_z
      - .offset:         52
        .size:           2
        .value_kind:     hidden_group_size_x
      - .offset:         54
        .size:           2
        .value_kind:     hidden_group_size_y
      - .offset:         56
        .size:           2
        .value_kind:     hidden_group_size_z
      - .offset:         58
        .size:           2
        .value_kind:     hidden_remainder_x
      - .offset:         60
        .size:           2
        .value_kind:     hidden_remainder_y
      - .offset:         62
        .size:           2
        .value_kind:     hidden_remainder_z
      - .offset:         80
        .size:           8
        .value_kind:     hidden_global_offset_x
      - .offset:         88
        .size:           8
        .value_kind:     hidden_global_offset_y
      - .offset:         96
        .size:           8
        .value_kind:     hidden_global_offset_z
      - .offset:         104
        .size:           2
        .value_kind:     hidden_grid_dims
    .group_segment_fixed_size: 0
    .kernarg_segment_align: 8
    .kernarg_segment_size: 296
    .language:       OpenCL C
    .language_version:
      - 2
      - 0
    .max_flat_workgroup_size: 1024
    .name:           _Z19warp_permute_kernelIhEvPT_PKS0_PKjjm
    .private_segment_fixed_size: 0
    .sgpr_count:     18
    .sgpr_spill_count: 0
    .symbol:         _Z19warp_permute_kernelIhEvPT_PKS0_PKjjm.kd
    .uniform_work_group_size: 1
    .uses_dynamic_stack: false
    .vgpr_count:     6
    .vgpr_spill_count: 0
    .wavefront_size: 32
    .workgroup_processor_mode: 1
  - .args:
      - .address_space:  global
        .offset:         0
        .size:           8
        .value_kind:     global_buffer
      - .address_space:  global
        .offset:         8
        .size:           8
        .value_kind:     global_buffer
      - .address_space:  global
        .offset:         16
        .size:           8
        .value_kind:     global_buffer
      - .offset:         24
        .size:           4
        .value_kind:     by_value
      - .offset:         32
        .size:           8
        .value_kind:     by_value
      - .offset:         40
        .size:           4
        .value_kind:     hidden_block_count_x
      - .offset:         44
        .size:           4
        .value_kind:     hidden_block_count_y
      - .offset:         48
        .size:           4
        .value_kind:     hidden_block_count_z
      - .offset:         52
        .size:           2
        .value_kind:     hidden_group_size_x
      - .offset:         54
        .size:           2
        .value_kind:     hidden_group_size_y
      - .offset:         56
        .size:           2
        .value_kind:     hidden_group_size_z
      - .offset:         58
        .size:           2
        .value_kind:     hidden_remainder_x
      - .offset:         60
        .size:           2
        .value_kind:     hidden_remainder_y
      - .offset:         62
        .size:           2
        .value_kind:     hidden_remainder_z
      - .offset:         80
        .size:           8
        .value_kind:     hidden_global_offset_x
      - .offset:         88
        .size:           8
        .value_kind:     hidden_global_offset_y
      - .offset:         96
        .size:           8
        .value_kind:     hidden_global_offset_z
      - .offset:         104
        .size:           2
        .value_kind:     hidden_grid_dims
    .group_segment_fixed_size: 0
    .kernarg_segment_align: 8
    .kernarg_segment_size: 296
    .language:       OpenCL C
    .language_version:
      - 2
      - 0
    .max_flat_workgroup_size: 1024
    .name:           _Z19warp_permute_kernelIdEvPT_PKS0_PKjjm
    .private_segment_fixed_size: 0
    .sgpr_count:     18
    .sgpr_spill_count: 0
    .symbol:         _Z19warp_permute_kernelIdEvPT_PKS0_PKjjm.kd
    .uniform_work_group_size: 1
    .uses_dynamic_stack: false
    .vgpr_count:     7
    .vgpr_spill_count: 0
    .wavefront_size: 32
    .workgroup_processor_mode: 1
  - .args:
      - .address_space:  global
        .offset:         0
        .size:           8
        .value_kind:     global_buffer
      - .address_space:  global
        .offset:         8
        .size:           8
        .value_kind:     global_buffer
      - .address_space:  global
        .offset:         16
        .size:           8
        .value_kind:     global_buffer
      - .offset:         24
        .size:           4
        .value_kind:     by_value
      - .offset:         32
        .size:           8
        .value_kind:     by_value
      - .offset:         40
        .size:           4
        .value_kind:     hidden_block_count_x
      - .offset:         44
        .size:           4
        .value_kind:     hidden_block_count_y
      - .offset:         48
        .size:           4
        .value_kind:     hidden_block_count_z
      - .offset:         52
        .size:           2
        .value_kind:     hidden_group_size_x
      - .offset:         54
        .size:           2
        .value_kind:     hidden_group_size_y
      - .offset:         56
        .size:           2
        .value_kind:     hidden_group_size_z
      - .offset:         58
        .size:           2
        .value_kind:     hidden_remainder_x
      - .offset:         60
        .size:           2
        .value_kind:     hidden_remainder_y
      - .offset:         62
        .size:           2
        .value_kind:     hidden_remainder_z
      - .offset:         80
        .size:           8
        .value_kind:     hidden_global_offset_x
      - .offset:         88
        .size:           8
        .value_kind:     hidden_global_offset_y
      - .offset:         96
        .size:           8
        .value_kind:     hidden_global_offset_z
      - .offset:         104
        .size:           2
        .value_kind:     hidden_grid_dims
    .group_segment_fixed_size: 0
    .kernarg_segment_align: 8
    .kernarg_segment_size: 296
    .language:       OpenCL C
    .language_version:
      - 2
      - 0
    .max_flat_workgroup_size: 1024
    .name:           _Z19warp_permute_kernelIfEvPT_PKS0_PKjjm
    .private_segment_fixed_size: 0
    .sgpr_count:     18
    .sgpr_spill_count: 0
    .symbol:         _Z19warp_permute_kernelIfEvPT_PKS0_PKjjm.kd
    .uniform_work_group_size: 1
    .uses_dynamic_stack: false
    .vgpr_count:     6
    .vgpr_spill_count: 0
    .wavefront_size: 32
    .workgroup_processor_mode: 1
  - .args:
      - .address_space:  global
        .offset:         0
        .size:           8
        .value_kind:     global_buffer
      - .address_space:  global
        .offset:         8
        .size:           8
        .value_kind:     global_buffer
      - .address_space:  global
        .offset:         16
        .size:           8
        .value_kind:     global_buffer
      - .offset:         24
        .size:           4
        .value_kind:     by_value
      - .offset:         32
        .size:           8
        .value_kind:     by_value
      - .offset:         40
        .size:           4
        .value_kind:     hidden_block_count_x
      - .offset:         44
        .size:           4
        .value_kind:     hidden_block_count_y
      - .offset:         48
        .size:           4
        .value_kind:     hidden_block_count_z
      - .offset:         52
        .size:           2
        .value_kind:     hidden_group_size_x
      - .offset:         54
        .size:           2
        .value_kind:     hidden_group_size_y
      - .offset:         56
        .size:           2
        .value_kind:     hidden_group_size_z
      - .offset:         58
        .size:           2
        .value_kind:     hidden_remainder_x
      - .offset:         60
        .size:           2
        .value_kind:     hidden_remainder_y
      - .offset:         62
        .size:           2
        .value_kind:     hidden_remainder_z
      - .offset:         80
        .size:           8
        .value_kind:     hidden_global_offset_x
      - .offset:         88
        .size:           8
        .value_kind:     hidden_global_offset_y
      - .offset:         96
        .size:           8
        .value_kind:     hidden_global_offset_z
      - .offset:         104
        .size:           2
        .value_kind:     hidden_grid_dims
    .group_segment_fixed_size: 0
    .kernarg_segment_align: 8
    .kernarg_segment_size: 296
    .language:       OpenCL C
    .language_version:
      - 2
      - 0
    .max_flat_workgroup_size: 1024
    .name:           _Z19warp_permute_kernelIiEvPT_PKS0_PKjjm
    .private_segment_fixed_size: 0
    .sgpr_count:     18
    .sgpr_spill_count: 0
    .symbol:         _Z19warp_permute_kernelIiEvPT_PKS0_PKjjm.kd
    .uniform_work_group_size: 1
    .uses_dynamic_stack: false
    .vgpr_count:     6
    .vgpr_spill_count: 0
    .wavefront_size: 32
    .workgroup_processor_mode: 1
  - .args:
      - .address_space:  global
        .offset:         0
        .size:           8
        .value_kind:     global_buffer
      - .address_space:  global
        .offset:         8
        .size:           8
        .value_kind:     global_buffer
      - .offset:         16
        .size:           8
        .value_kind:     by_value
      - .offset:         24
        .size:           8
        .value_kind:     by_value
      - .offset:         32
        .size:           4
        .value_kind:     hidden_block_count_x
      - .offset:         36
        .size:           4
        .value_kind:     hidden_block_count_y
      - .offset:         40
        .size:           4
        .value_kind:     hidden_block_count_z
      - .offset:         44
        .size:           2
        .value_kind:     hidden_group_size_x
      - .offset:         46
        .size:           2
        .value_kind:     hidden_group_size_y
      - .offset:         48
        .size:           2
        .value_kind:     hidden_group_size_z
      - .offset:         50
        .size:           2
        .value_kind:     hidden_remainder_x
      - .offset:         52
        .size:           2
        .value_kind:     hidden_remainder_y
      - .offset:         54
        .size:           2
        .value_kind:     hidden_remainder_z
      - .offset:         72
        .size:           8
        .value_kind:     hidden_global_offset_x
      - .offset:         80
        .size:           8
        .value_kind:     hidden_global_offset_y
      - .offset:         88
        .size:           8
        .value_kind:     hidden_global_offset_z
      - .offset:         96
        .size:           2
        .value_kind:     hidden_grid_dims
    .group_segment_fixed_size: 0
    .kernarg_segment_align: 8
    .kernarg_segment_size: 288
    .language:       OpenCL C
    .language_version:
      - 2
      - 0
    .max_flat_workgroup_size: 1024
    .name:           _Z16match_any_kernelILj3EEvPmPKjmm
    .private_segment_fixed_size: 0
    .sgpr_count:     18
    .sgpr_spill_count: 0
    .symbol:         _Z16match_any_kernelILj3EEvPmPKjmm.kd
    .uniform_work_group_size: 1
    .uses_dynamic_stack: false
    .vgpr_count:     9
    .vgpr_spill_count: 0
    .wavefront_size: 32
    .workgroup_processor_mode: 1
amdhsa.target:   amdgcn-amd-amdhsa--gfx1100
amdhsa.version:
  - 1
  - 2
...

	.end_amdgpu_metadata
